;; amdgpu-corpus repo=ROCm/rocFFT kind=compiled arch=gfx1201 opt=O3
	.text
	.amdgcn_target "amdgcn-amd-amdhsa--gfx1201"
	.amdhsa_code_object_version 6
	.protected	fft_rtc_fwd_len748_factors_17_4_11_wgs_204_tpt_68_halfLds_dp_op_CI_CI_unitstride_sbrr_R2C_dirReg ; -- Begin function fft_rtc_fwd_len748_factors_17_4_11_wgs_204_tpt_68_halfLds_dp_op_CI_CI_unitstride_sbrr_R2C_dirReg
	.globl	fft_rtc_fwd_len748_factors_17_4_11_wgs_204_tpt_68_halfLds_dp_op_CI_CI_unitstride_sbrr_R2C_dirReg
	.p2align	8
	.type	fft_rtc_fwd_len748_factors_17_4_11_wgs_204_tpt_68_halfLds_dp_op_CI_CI_unitstride_sbrr_R2C_dirReg,@function
fft_rtc_fwd_len748_factors_17_4_11_wgs_204_tpt_68_halfLds_dp_op_CI_CI_unitstride_sbrr_R2C_dirReg: ; @fft_rtc_fwd_len748_factors_17_4_11_wgs_204_tpt_68_halfLds_dp_op_CI_CI_unitstride_sbrr_R2C_dirReg
; %bb.0:
	s_load_b128 s[8:11], s[0:1], 0x0
	v_mul_u32_u24_e32 v1, 0x3c4, v0
	s_clause 0x1
	s_load_b128 s[4:7], s[0:1], 0x58
	s_load_b128 s[12:15], s[0:1], 0x18
	v_mov_b32_e32 v5, 0
	v_lshrrev_b32_e32 v3, 16, v1
	v_mov_b32_e32 v1, 0
	v_mov_b32_e32 v2, 0
	s_delay_alu instid0(VALU_DEP_3) | instskip(NEXT) | instid1(VALU_DEP_2)
	v_mad_co_u64_u32 v[3:4], null, ttmp9, 3, v[3:4]
	v_dual_mov_b32 v4, v5 :: v_dual_mov_b32 v85, v2
	s_delay_alu instid0(VALU_DEP_1) | instskip(NEXT) | instid1(VALU_DEP_3)
	v_dual_mov_b32 v84, v1 :: v_dual_mov_b32 v89, v4
	v_mov_b32_e32 v88, v3
	s_wait_kmcnt 0x0
	v_cmp_lt_u64_e64 s2, s[10:11], 2
	s_delay_alu instid0(VALU_DEP_1)
	s_and_b32 vcc_lo, exec_lo, s2
	s_cbranch_vccnz .LBB0_8
; %bb.1:
	s_load_b64 s[2:3], s[0:1], 0x10
	v_dual_mov_b32 v1, 0 :: v_dual_mov_b32 v8, v4
	v_dual_mov_b32 v2, 0 :: v_dual_mov_b32 v7, v3
	s_add_nc_u64 s[16:17], s[14:15], 8
	s_add_nc_u64 s[18:19], s[12:13], 8
	s_mov_b64 s[20:21], 1
	s_delay_alu instid0(VALU_DEP_1)
	v_dual_mov_b32 v85, v2 :: v_dual_mov_b32 v84, v1
	s_wait_kmcnt 0x0
	s_add_nc_u64 s[22:23], s[2:3], 8
	s_mov_b32 s3, 0
.LBB0_2:                                ; =>This Inner Loop Header: Depth=1
	s_load_b64 s[24:25], s[22:23], 0x0
                                        ; implicit-def: $vgpr88_vgpr89
	s_mov_b32 s2, exec_lo
	s_wait_kmcnt 0x0
	v_or_b32_e32 v6, s25, v8
	s_delay_alu instid0(VALU_DEP_1)
	v_cmpx_ne_u64_e32 0, v[5:6]
	s_wait_alu 0xfffe
	s_xor_b32 s26, exec_lo, s2
	s_cbranch_execz .LBB0_4
; %bb.3:                                ;   in Loop: Header=BB0_2 Depth=1
	s_cvt_f32_u32 s2, s24
	s_cvt_f32_u32 s27, s25
	s_sub_nc_u64 s[30:31], 0, s[24:25]
	s_wait_alu 0xfffe
	s_delay_alu instid0(SALU_CYCLE_1) | instskip(SKIP_1) | instid1(SALU_CYCLE_2)
	s_fmamk_f32 s2, s27, 0x4f800000, s2
	s_wait_alu 0xfffe
	v_s_rcp_f32 s2, s2
	s_delay_alu instid0(TRANS32_DEP_1) | instskip(SKIP_1) | instid1(SALU_CYCLE_2)
	s_mul_f32 s2, s2, 0x5f7ffffc
	s_wait_alu 0xfffe
	s_mul_f32 s27, s2, 0x2f800000
	s_wait_alu 0xfffe
	s_delay_alu instid0(SALU_CYCLE_2) | instskip(SKIP_1) | instid1(SALU_CYCLE_2)
	s_trunc_f32 s27, s27
	s_wait_alu 0xfffe
	s_fmamk_f32 s2, s27, 0xcf800000, s2
	s_cvt_u32_f32 s29, s27
	s_wait_alu 0xfffe
	s_delay_alu instid0(SALU_CYCLE_1) | instskip(SKIP_1) | instid1(SALU_CYCLE_2)
	s_cvt_u32_f32 s28, s2
	s_wait_alu 0xfffe
	s_mul_u64 s[34:35], s[30:31], s[28:29]
	s_wait_alu 0xfffe
	s_mul_hi_u32 s37, s28, s35
	s_mul_i32 s36, s28, s35
	s_mul_hi_u32 s2, s28, s34
	s_mul_i32 s33, s29, s34
	s_wait_alu 0xfffe
	s_add_nc_u64 s[36:37], s[2:3], s[36:37]
	s_mul_hi_u32 s27, s29, s34
	s_mul_hi_u32 s38, s29, s35
	s_add_co_u32 s2, s36, s33
	s_wait_alu 0xfffe
	s_add_co_ci_u32 s2, s37, s27
	s_mul_i32 s34, s29, s35
	s_add_co_ci_u32 s35, s38, 0
	s_wait_alu 0xfffe
	s_add_nc_u64 s[34:35], s[2:3], s[34:35]
	s_wait_alu 0xfffe
	v_add_co_u32 v4, s2, s28, s34
	s_delay_alu instid0(VALU_DEP_1) | instskip(SKIP_1) | instid1(VALU_DEP_1)
	s_cmp_lg_u32 s2, 0
	s_add_co_ci_u32 s29, s29, s35
	v_readfirstlane_b32 s28, v4
	s_wait_alu 0xfffe
	s_delay_alu instid0(VALU_DEP_1)
	s_mul_u64 s[30:31], s[30:31], s[28:29]
	s_wait_alu 0xfffe
	s_mul_hi_u32 s35, s28, s31
	s_mul_i32 s34, s28, s31
	s_mul_hi_u32 s2, s28, s30
	s_mul_i32 s33, s29, s30
	s_wait_alu 0xfffe
	s_add_nc_u64 s[34:35], s[2:3], s[34:35]
	s_mul_hi_u32 s27, s29, s30
	s_mul_hi_u32 s28, s29, s31
	s_wait_alu 0xfffe
	s_add_co_u32 s2, s34, s33
	s_add_co_ci_u32 s2, s35, s27
	s_mul_i32 s30, s29, s31
	s_add_co_ci_u32 s31, s28, 0
	s_wait_alu 0xfffe
	s_add_nc_u64 s[30:31], s[2:3], s[30:31]
	s_wait_alu 0xfffe
	v_add_co_u32 v4, s2, v4, s30
	s_delay_alu instid0(VALU_DEP_1) | instskip(SKIP_1) | instid1(VALU_DEP_1)
	s_cmp_lg_u32 s2, 0
	s_add_co_ci_u32 s2, s29, s31
	v_mul_hi_u32 v6, v7, v4
	s_wait_alu 0xfffe
	v_mad_co_u64_u32 v[9:10], null, v7, s2, 0
	v_mad_co_u64_u32 v[11:12], null, v8, v4, 0
	;; [unrolled: 1-line block ×3, first 2 shown]
	s_delay_alu instid0(VALU_DEP_3) | instskip(SKIP_1) | instid1(VALU_DEP_4)
	v_add_co_u32 v4, vcc_lo, v6, v9
	s_wait_alu 0xfffd
	v_add_co_ci_u32_e32 v6, vcc_lo, 0, v10, vcc_lo
	s_delay_alu instid0(VALU_DEP_2) | instskip(SKIP_1) | instid1(VALU_DEP_2)
	v_add_co_u32 v4, vcc_lo, v4, v11
	s_wait_alu 0xfffd
	v_add_co_ci_u32_e32 v4, vcc_lo, v6, v12, vcc_lo
	s_wait_alu 0xfffd
	v_add_co_ci_u32_e32 v6, vcc_lo, 0, v14, vcc_lo
	s_delay_alu instid0(VALU_DEP_2) | instskip(SKIP_1) | instid1(VALU_DEP_2)
	v_add_co_u32 v4, vcc_lo, v4, v13
	s_wait_alu 0xfffd
	v_add_co_ci_u32_e32 v6, vcc_lo, 0, v6, vcc_lo
	s_delay_alu instid0(VALU_DEP_2) | instskip(SKIP_1) | instid1(VALU_DEP_3)
	v_mul_lo_u32 v11, s25, v4
	v_mad_co_u64_u32 v[9:10], null, s24, v4, 0
	v_mul_lo_u32 v12, s24, v6
	s_delay_alu instid0(VALU_DEP_2) | instskip(NEXT) | instid1(VALU_DEP_2)
	v_sub_co_u32 v9, vcc_lo, v7, v9
	v_add3_u32 v10, v10, v12, v11
	s_delay_alu instid0(VALU_DEP_1) | instskip(SKIP_1) | instid1(VALU_DEP_1)
	v_sub_nc_u32_e32 v11, v8, v10
	s_wait_alu 0xfffd
	v_subrev_co_ci_u32_e64 v11, s2, s25, v11, vcc_lo
	v_add_co_u32 v12, s2, v4, 2
	s_wait_alu 0xf1ff
	v_add_co_ci_u32_e64 v13, s2, 0, v6, s2
	v_sub_co_u32 v14, s2, v9, s24
	v_sub_co_ci_u32_e32 v10, vcc_lo, v8, v10, vcc_lo
	s_wait_alu 0xf1ff
	v_subrev_co_ci_u32_e64 v11, s2, 0, v11, s2
	s_delay_alu instid0(VALU_DEP_3) | instskip(NEXT) | instid1(VALU_DEP_3)
	v_cmp_le_u32_e32 vcc_lo, s24, v14
	v_cmp_eq_u32_e64 s2, s25, v10
	s_wait_alu 0xfffd
	v_cndmask_b32_e64 v14, 0, -1, vcc_lo
	v_cmp_le_u32_e32 vcc_lo, s25, v11
	s_wait_alu 0xfffd
	v_cndmask_b32_e64 v15, 0, -1, vcc_lo
	v_cmp_le_u32_e32 vcc_lo, s24, v9
	;; [unrolled: 3-line block ×3, first 2 shown]
	s_wait_alu 0xfffd
	v_cndmask_b32_e64 v16, 0, -1, vcc_lo
	v_cmp_eq_u32_e32 vcc_lo, s25, v11
	s_wait_alu 0xf1ff
	s_delay_alu instid0(VALU_DEP_2)
	v_cndmask_b32_e64 v9, v16, v9, s2
	s_wait_alu 0xfffd
	v_cndmask_b32_e32 v11, v15, v14, vcc_lo
	v_add_co_u32 v14, vcc_lo, v4, 1
	s_wait_alu 0xfffd
	v_add_co_ci_u32_e32 v15, vcc_lo, 0, v6, vcc_lo
	s_delay_alu instid0(VALU_DEP_3) | instskip(SKIP_1) | instid1(VALU_DEP_2)
	v_cmp_ne_u32_e32 vcc_lo, 0, v11
	s_wait_alu 0xfffd
	v_dual_cndmask_b32 v10, v15, v13 :: v_dual_cndmask_b32 v11, v14, v12
	v_cmp_ne_u32_e32 vcc_lo, 0, v9
	s_wait_alu 0xfffd
	s_delay_alu instid0(VALU_DEP_2)
	v_dual_cndmask_b32 v89, v6, v10 :: v_dual_cndmask_b32 v88, v4, v11
.LBB0_4:                                ;   in Loop: Header=BB0_2 Depth=1
	s_wait_alu 0xfffe
	s_and_not1_saveexec_b32 s2, s26
	s_cbranch_execz .LBB0_6
; %bb.5:                                ;   in Loop: Header=BB0_2 Depth=1
	v_cvt_f32_u32_e32 v4, s24
	s_sub_co_i32 s26, 0, s24
	v_mov_b32_e32 v89, v5
	s_delay_alu instid0(VALU_DEP_2) | instskip(NEXT) | instid1(TRANS32_DEP_1)
	v_rcp_iflag_f32_e32 v4, v4
	v_mul_f32_e32 v4, 0x4f7ffffe, v4
	s_delay_alu instid0(VALU_DEP_1) | instskip(SKIP_1) | instid1(VALU_DEP_1)
	v_cvt_u32_f32_e32 v4, v4
	s_wait_alu 0xfffe
	v_mul_lo_u32 v6, s26, v4
	s_delay_alu instid0(VALU_DEP_1) | instskip(NEXT) | instid1(VALU_DEP_1)
	v_mul_hi_u32 v6, v4, v6
	v_add_nc_u32_e32 v4, v4, v6
	s_delay_alu instid0(VALU_DEP_1) | instskip(NEXT) | instid1(VALU_DEP_1)
	v_mul_hi_u32 v4, v7, v4
	v_mul_lo_u32 v6, v4, s24
	s_delay_alu instid0(VALU_DEP_1) | instskip(NEXT) | instid1(VALU_DEP_1)
	v_sub_nc_u32_e32 v6, v7, v6
	v_subrev_nc_u32_e32 v10, s24, v6
	v_cmp_le_u32_e32 vcc_lo, s24, v6
	s_wait_alu 0xfffd
	s_delay_alu instid0(VALU_DEP_2) | instskip(NEXT) | instid1(VALU_DEP_1)
	v_dual_cndmask_b32 v6, v6, v10 :: v_dual_add_nc_u32 v9, 1, v4
	v_cndmask_b32_e32 v4, v4, v9, vcc_lo
	s_delay_alu instid0(VALU_DEP_2) | instskip(NEXT) | instid1(VALU_DEP_2)
	v_cmp_le_u32_e32 vcc_lo, s24, v6
	v_add_nc_u32_e32 v9, 1, v4
	s_wait_alu 0xfffd
	s_delay_alu instid0(VALU_DEP_1)
	v_cndmask_b32_e32 v88, v4, v9, vcc_lo
.LBB0_6:                                ;   in Loop: Header=BB0_2 Depth=1
	s_wait_alu 0xfffe
	s_or_b32 exec_lo, exec_lo, s2
	v_mul_lo_u32 v4, v89, s24
	s_delay_alu instid0(VALU_DEP_2)
	v_mul_lo_u32 v6, v88, s25
	s_load_b64 s[26:27], s[18:19], 0x0
	v_mad_co_u64_u32 v[9:10], null, v88, s24, 0
	s_load_b64 s[24:25], s[16:17], 0x0
	s_add_nc_u64 s[20:21], s[20:21], 1
	s_add_nc_u64 s[16:17], s[16:17], 8
	s_wait_alu 0xfffe
	v_cmp_ge_u64_e64 s2, s[20:21], s[10:11]
	s_add_nc_u64 s[18:19], s[18:19], 8
	s_add_nc_u64 s[22:23], s[22:23], 8
	v_add3_u32 v4, v10, v6, v4
	v_sub_co_u32 v6, vcc_lo, v7, v9
	s_wait_alu 0xfffd
	s_delay_alu instid0(VALU_DEP_2) | instskip(SKIP_2) | instid1(VALU_DEP_1)
	v_sub_co_ci_u32_e32 v4, vcc_lo, v8, v4, vcc_lo
	s_and_b32 vcc_lo, exec_lo, s2
	s_wait_kmcnt 0x0
	v_mul_lo_u32 v7, s26, v4
	v_mul_lo_u32 v8, s27, v6
	v_mad_co_u64_u32 v[1:2], null, s26, v6, v[1:2]
	v_mul_lo_u32 v4, s24, v4
	v_mul_lo_u32 v9, s25, v6
	v_mad_co_u64_u32 v[84:85], null, s24, v6, v[84:85]
	s_delay_alu instid0(VALU_DEP_4) | instskip(NEXT) | instid1(VALU_DEP_2)
	v_add3_u32 v2, v8, v2, v7
	v_add3_u32 v85, v9, v85, v4
	s_wait_alu 0xfffe
	s_cbranch_vccnz .LBB0_8
; %bb.7:                                ;   in Loop: Header=BB0_2 Depth=1
	v_dual_mov_b32 v7, v88 :: v_dual_mov_b32 v8, v89
	s_branch .LBB0_2
.LBB0_8:
	s_load_b64 s[0:1], s[0:1], 0x28
	v_mul_hi_u32 v4, 0xaaaaaaab, v3
                                        ; implicit-def: $vgpr86
	s_delay_alu instid0(VALU_DEP_1) | instskip(NEXT) | instid1(VALU_DEP_1)
	v_lshrrev_b32_e32 v4, 1, v4
	v_lshl_add_u32 v5, v4, 1, v4
	v_mul_hi_u32 v4, 0x3c3c3c4, v0
	s_delay_alu instid0(VALU_DEP_2) | instskip(SKIP_3) | instid1(VALU_DEP_1)
	v_sub_nc_u32_e32 v3, v3, v5
	s_wait_kmcnt 0x0
	v_cmp_gt_u64_e32 vcc_lo, s[0:1], v[88:89]
	v_cmp_le_u64_e64 s0, s[0:1], v[88:89]
	s_and_saveexec_b32 s1, s0
	s_wait_alu 0xfffe
	s_xor_b32 s0, exec_lo, s1
; %bb.9:
	v_mul_u32_u24_e32 v1, 0x44, v4
                                        ; implicit-def: $vgpr4
	s_delay_alu instid0(VALU_DEP_1)
	v_sub_nc_u32_e32 v86, v0, v1
                                        ; implicit-def: $vgpr0
                                        ; implicit-def: $vgpr1_vgpr2
; %bb.10:
	s_wait_alu 0xfffe
	s_or_saveexec_b32 s1, s0
	v_mul_u32_u24_e32 v3, 0x2ed, v3
	s_delay_alu instid0(VALU_DEP_1)
	v_lshlrev_b32_e32 v221, 4, v3
	s_wait_alu 0xfffe
	s_xor_b32 exec_lo, exec_lo, s1
	s_cbranch_execz .LBB0_12
; %bb.11:
	s_lshl_b64 s[2:3], s[10:11], 3
	v_lshlrev_b64_e32 v[1:2], 4, v[1:2]
	s_wait_alu 0xfffe
	s_add_nc_u64 s[2:3], s[12:13], s[2:3]
	s_load_b64 s[2:3], s[2:3], 0x0
	s_wait_kmcnt 0x0
	v_mul_lo_u32 v3, s3, v88
	v_mul_lo_u32 v7, s2, v89
	v_mad_co_u64_u32 v[5:6], null, s2, v88, 0
	s_delay_alu instid0(VALU_DEP_1) | instskip(SKIP_1) | instid1(VALU_DEP_2)
	v_add3_u32 v6, v6, v7, v3
	v_mul_u32_u24_e32 v7, 0x44, v4
	v_lshlrev_b64_e32 v[3:4], 4, v[5:6]
	s_delay_alu instid0(VALU_DEP_2) | instskip(NEXT) | instid1(VALU_DEP_1)
	v_sub_nc_u32_e32 v86, v0, v7
	v_lshlrev_b32_e32 v44, 4, v86
	s_delay_alu instid0(VALU_DEP_3) | instskip(SKIP_1) | instid1(VALU_DEP_4)
	v_add_co_u32 v0, s0, s4, v3
	s_wait_alu 0xf1ff
	v_add_co_ci_u32_e64 v3, s0, s5, v4, s0
	s_delay_alu instid0(VALU_DEP_2) | instskip(SKIP_1) | instid1(VALU_DEP_2)
	v_add_co_u32 v0, s0, v0, v1
	s_wait_alu 0xf1ff
	v_add_co_ci_u32_e64 v1, s0, v3, v2, s0
	s_delay_alu instid0(VALU_DEP_2) | instskip(SKIP_1) | instid1(VALU_DEP_2)
	v_add_co_u32 v40, s0, v0, v44
	s_wait_alu 0xf1ff
	v_add_co_ci_u32_e64 v41, s0, 0, v1, s0
	s_clause 0xa
	global_load_b128 v[0:3], v[40:41], off
	global_load_b128 v[4:7], v[40:41], off offset:1088
	global_load_b128 v[8:11], v[40:41], off offset:2176
	;; [unrolled: 1-line block ×10, first 2 shown]
	v_add3_u32 v44, 0, v221, v44
	s_wait_loadcnt 0xa
	ds_store_b128 v44, v[0:3]
	s_wait_loadcnt 0x9
	ds_store_b128 v44, v[4:7] offset:1088
	s_wait_loadcnt 0x8
	ds_store_b128 v44, v[8:11] offset:2176
	;; [unrolled: 2-line block ×10, first 2 shown]
.LBB0_12:
	s_or_b32 exec_lo, exec_lo, s1
	v_lshlrev_b32_e32 v87, 4, v86
	global_wb scope:SCOPE_SE
	s_wait_dscnt 0x0
	s_barrier_signal -1
	s_barrier_wait -1
	global_inv scope:SCOPE_SE
	v_add3_u32 v220, 0, v87, v221
	v_add_nc_u32_e32 v218, 0, v221
	s_mov_b32 s2, 0x6c9a05f6
	s_mov_b32 s4, 0x4363dd80
	;; [unrolled: 1-line block ×3, first 2 shown]
	ds_load_b128 v[16:19], v220 offset:11264
	ds_load_b128 v[32:35], v220 offset:704
	v_add_nc_u32_e32 v219, v218, v87
	s_mov_b32 s3, 0xbfe9895b
	s_mov_b32 s5, 0xbfe0d888
	;; [unrolled: 1-line block ×4, first 2 shown]
	ds_load_b128 v[20:23], v219
	ds_load_b128 v[24:27], v220 offset:10560
	ds_load_b128 v[40:43], v220 offset:1408
	;; [unrolled: 1-line block ×4, first 2 shown]
	s_mov_b32 s22, 0x923c349f
	s_mov_b32 s26, 0x5d8e7cdc
	;; [unrolled: 1-line block ×11, first 2 shown]
	s_wait_dscnt 0x5
	v_add_f64_e64 v[116:117], v[34:35], -v[18:19]
	v_add_f64_e64 v[120:121], v[32:33], -v[16:17]
	v_add_f64_e32 v[138:139], v[32:33], v[16:17]
	v_add_f64_e32 v[146:147], v[34:35], v[18:19]
	ds_load_b128 v[36:39], v220 offset:9152
	ds_load_b128 v[56:59], v220 offset:2816
	s_mov_b32 s28, 0xc61f0d01
	s_wait_dscnt 0x4
	v_add_f64_e64 v[92:93], v[42:43], -v[26:27]
	v_add_f64_e64 v[90:91], v[40:41], -v[24:25]
	s_wait_dscnt 0x2
	v_add_f64_e64 v[98:99], v[46:47], -v[30:31]
	v_add_f64_e64 v[94:95], v[44:45], -v[28:29]
	v_add_f64_e32 v[96:97], v[40:41], v[24:25]
	v_add_f64_e32 v[104:105], v[42:43], v[26:27]
	s_mov_b32 s34, 0x370991
	s_mov_b32 s42, 0xeb564b22
	;; [unrolled: 1-line block ×8, first 2 shown]
	s_wait_alu 0xfffe
	s_mov_b32 s44, s26
	v_add_f64_e32 v[100:101], v[44:45], v[28:29]
	v_add_f64_e32 v[118:119], v[46:47], v[30:31]
	ds_load_b128 v[64:67], v220 offset:3520
	ds_load_b128 v[48:51], v220 offset:8448
	s_wait_dscnt 0x2
	v_add_f64_e64 v[114:115], v[58:59], -v[38:39]
	v_add_f64_e64 v[102:103], v[56:57], -v[36:37]
	s_mov_b32 s38, 0x3259b75e
	s_mov_b32 s40, 0x2a9d6da3
	;; [unrolled: 1-line block ×6, first 2 shown]
	v_add_f64_e32 v[106:107], v[56:57], v[36:37]
	v_add_f64_e32 v[128:129], v[58:59], v[38:39]
	s_mov_b32 s48, 0x75d4884
	s_mov_b32 s47, 0x3fefdd0d
	;; [unrolled: 1-line block ×3, first 2 shown]
	v_mul_f64_e32 v[148:149], s[2:3], v[116:117]
	v_mul_f64_e32 v[150:151], s[2:3], v[120:121]
	;; [unrolled: 1-line block ×6, first 2 shown]
	s_wait_dscnt 0x0
	v_add_f64_e64 v[122:123], v[66:67], -v[50:51]
	v_mul_f64_e32 v[158:159], s[22:23], v[92:93]
	v_mul_f64_e32 v[160:161], s[22:23], v[90:91]
	;; [unrolled: 1-line block ×12, first 2 shown]
	v_add_f64_e64 v[108:109], v[64:65], -v[48:49]
	s_mov_b32 s46, s42
	v_add_f64_e32 v[110:111], v[64:65], v[48:49]
	v_add_f64_e32 v[136:137], v[66:67], v[50:51]
	s_mov_b32 s51, 0xbfe58eea
	s_mov_b32 s50, s40
	v_mul_f64_e32 v[174:175], s[4:5], v[114:115]
	v_mul_f64_e32 v[176:177], s[4:5], v[102:103]
	;; [unrolled: 1-line block ×6, first 2 shown]
	s_mov_b32 s53, 0xbfeec746
	s_mov_b32 s52, s22
	s_lshl_b64 s[10:11], s[10:11], 3
	s_mov_b32 s33, exec_lo
	v_fma_f64 v[4:5], v[138:139], s[20:21], v[148:149]
	v_fma_f64 v[8:9], v[146:147], s[20:21], -v[150:151]
	v_fma_f64 v[12:13], v[138:139], s[18:19], v[164:165]
	v_fma_f64 v[14:15], v[146:147], s[18:19], -v[168:169]
	v_fma_f64 v[52:53], v[138:139], s[16:17], -v[0:1]
	v_fma_f64 v[54:55], v[146:147], s[16:17], v[2:3]
	v_fma_f64 v[0:1], v[138:139], s[16:17], v[0:1]
	v_fma_f64 v[2:3], v[146:147], s[16:17], -v[2:3]
	v_fma_f64 v[68:69], v[96:97], s[28:29], v[158:159]
	v_fma_f64 v[70:71], v[104:105], s[28:29], -v[160:161]
	v_fma_f64 v[72:73], v[96:97], s[30:31], v[162:163]
	v_fma_f64 v[74:75], v[104:105], s[30:31], -v[166:167]
	v_fma_f64 v[76:77], v[96:97], s[34:35], -v[6:7]
	v_fma_f64 v[78:79], v[104:105], s[34:35], v[10:11]
	v_fma_f64 v[6:7], v[96:97], s[34:35], v[6:7]
	v_fma_f64 v[10:11], v[104:105], s[34:35], -v[10:11]
	;; [unrolled: 8-line block ×3, first 2 shown]
	v_mul_f64_e32 v[182:183], s[46:47], v[122:123]
	v_mul_f64_e32 v[186:187], s[46:47], v[108:109]
	;; [unrolled: 1-line block ×4, first 2 shown]
	v_fma_f64 v[196:197], v[106:107], s[18:19], v[174:175]
	v_fma_f64 v[202:203], v[128:129], s[18:19], -v[176:177]
	v_fma_f64 v[204:205], v[106:107], s[20:21], v[184:185]
	v_fma_f64 v[208:209], v[128:129], s[20:21], -v[188:189]
	;; [unrolled: 2-line block ×3, first 2 shown]
	v_add_f64_e32 v[4:5], v[20:21], v[4:5]
	v_add_f64_e32 v[8:9], v[22:23], v[8:9]
	;; [unrolled: 1-line block ×8, first 2 shown]
	ds_load_b128 v[52:55], v220 offset:7744
	v_fma_f64 v[222:223], v[110:111], s[38:39], v[182:183]
	v_fma_f64 v[224:225], v[136:137], s[38:39], -v[186:187]
	v_fma_f64 v[226:227], v[110:111], s[34:35], v[192:193]
	v_fma_f64 v[228:229], v[136:137], s[34:35], -v[198:199]
	v_add_f64_e32 v[4:5], v[68:69], v[4:5]
	v_add_f64_e32 v[8:9], v[70:71], v[8:9]
	ds_load_b128 v[68:71], v220 offset:4224
	v_add_f64_e32 v[12:13], v[72:73], v[12:13]
	v_add_f64_e32 v[14:15], v[74:75], v[14:15]
	;; [unrolled: 1-line block ×6, first 2 shown]
	v_mul_f64_e32 v[6:7], s[2:3], v[122:123]
	v_mul_f64_e32 v[10:11], s[2:3], v[108:109]
	ds_load_b128 v[76:79], v220 offset:4928
	ds_load_b128 v[60:63], v220 offset:7040
	s_wait_dscnt 0x2
	v_add_f64_e64 v[134:135], v[70:71], -v[54:55]
	v_add_f64_e64 v[112:113], v[68:69], -v[52:53]
	v_add_f64_e32 v[4:5], v[130:131], v[4:5]
	v_fma_f64 v[130:131], v[106:107], s[48:49], -v[124:125]
	v_add_f64_e32 v[8:9], v[132:133], v[8:9]
	v_fma_f64 v[132:133], v[128:129], s[48:49], v[126:127]
	v_add_f64_e32 v[12:13], v[140:141], v[12:13]
	v_add_f64_e32 v[14:15], v[142:143], v[14:15]
	;; [unrolled: 1-line block ×8, first 2 shown]
	s_wait_dscnt 0x0
	v_add_f64_e64 v[142:143], v[78:79], -v[62:63]
	v_add_f64_e64 v[126:127], v[76:77], -v[60:61]
	v_fma_f64 v[230:231], v[110:111], s[20:21], -v[6:7]
	v_fma_f64 v[6:7], v[110:111], s[20:21], v[6:7]
	ds_load_b128 v[80:83], v220 offset:5632
	ds_load_b128 v[72:75], v220 offset:6336
	v_add_f64_e32 v[154:155], v[78:79], v[62:63]
	global_wb scope:SCOPE_SE
	s_wait_dscnt 0x0
	s_barrier_signal -1
	s_barrier_wait -1
	global_inv scope:SCOPE_SE
	v_mul_f64_e32 v[190:191], s[50:51], v[134:135]
	v_mul_f64_e32 v[194:195], s[50:51], v[112:113]
	v_mul_f64_e32 v[200:201], s[12:13], v[134:135]
	v_mul_f64_e32 v[206:207], s[12:13], v[112:113]
	v_mul_f64_e32 v[156:157], s[24:25], v[134:135]
	v_mul_f64_e32 v[216:217], s[24:25], v[112:113]
	v_add_f64_e32 v[4:5], v[196:197], v[4:5]
	v_add_f64_e32 v[8:9], v[202:203], v[8:9]
	v_fma_f64 v[202:203], v[136:137], s[20:21], v[10:11]
	v_fma_f64 v[10:11], v[136:137], s[20:21], -v[10:11]
	v_add_f64_e32 v[12:13], v[204:205], v[12:13]
	v_add_f64_e32 v[14:15], v[208:209], v[14:15]
	;; [unrolled: 1-line block ×7, first 2 shown]
	v_add_f64_e64 v[152:153], v[82:83], -v[74:75]
	v_add_f64_e64 v[132:133], v[80:81], -v[72:73]
	v_mul_f64_e32 v[196:197], s[12:13], v[142:143]
	v_mul_f64_e32 v[204:205], s[12:13], v[126:127]
	;; [unrolled: 1-line block ×6, first 2 shown]
	v_fma_f64 v[238:239], v[124:125], s[48:49], v[190:191]
	v_fma_f64 v[240:241], v[144:145], s[48:49], -v[194:195]
	v_fma_f64 v[242:243], v[124:125], s[16:17], v[200:201]
	v_fma_f64 v[244:245], v[144:145], s[16:17], -v[206:207]
	;; [unrolled: 2-line block ×3, first 2 shown]
	v_add_f64_e32 v[4:5], v[222:223], v[4:5]
	v_fma_f64 v[222:223], v[124:125], s[30:31], -v[156:157]
	v_add_f64_e32 v[8:9], v[224:225], v[8:9]
	v_fma_f64 v[224:225], v[144:145], s[30:31], v[216:217]
	v_add_f64_e32 v[156:157], v[82:83], v[74:75]
	v_add_f64_e32 v[12:13], v[226:227], v[12:13]
	;; [unrolled: 1-line block ×8, first 2 shown]
	v_mul_f64_e32 v[202:203], s[24:25], v[152:153]
	v_mul_f64_e32 v[210:211], s[24:25], v[132:133]
	;; [unrolled: 1-line block ×6, first 2 shown]
	v_fma_f64 v[230:231], v[130:131], s[16:17], v[196:197]
	v_fma_f64 v[232:233], v[154:155], s[16:17], -v[204:205]
	v_fma_f64 v[250:251], v[130:131], s[48:49], v[208:209]
	v_fma_f64 v[252:253], v[154:155], s[48:49], -v[214:215]
	v_add_f64_e32 v[4:5], v[238:239], v[4:5]
	v_fma_f64 v[238:239], v[130:131], s[28:29], -v[234:235]
	v_add_f64_e32 v[8:9], v[240:241], v[8:9]
	v_fma_f64 v[240:241], v[154:155], s[28:29], v[236:237]
	v_fma_f64 v[234:235], v[130:131], s[28:29], v[234:235]
	v_fma_f64 v[236:237], v[154:155], s[28:29], -v[236:237]
	v_add_f64_e32 v[12:13], v[242:243], v[12:13]
	v_add_f64_e32 v[14:15], v[244:245], v[14:15]
	v_add_f64_e32 v[222:223], v[222:223], v[226:227]
	v_add_f64_e32 v[224:225], v[224:225], v[228:229]
	v_add_f64_e32 v[0:1], v[246:247], v[0:1]
	v_add_f64_e32 v[2:3], v[248:249], v[2:3]
	v_fma_f64 v[226:227], v[140:141], s[30:31], v[202:203]
	v_fma_f64 v[228:229], v[156:157], s[30:31], -v[210:211]
	v_fma_f64 v[242:243], v[140:141], s[28:29], v[212:213]
	v_fma_f64 v[244:245], v[156:157], s[28:29], -v[216:217]
	v_fma_f64 v[246:247], v[140:141], s[38:39], -v[6:7]
	v_fma_f64 v[248:249], v[156:157], s[38:39], v[10:11]
	v_fma_f64 v[6:7], v[140:141], s[38:39], v[6:7]
	v_fma_f64 v[254:255], v[156:157], s[38:39], -v[10:11]
	v_add_f64_e32 v[4:5], v[230:231], v[4:5]
	v_add_f64_e32 v[8:9], v[232:233], v[8:9]
	;; [unrolled: 1-line block ×16, first 2 shown]
	v_cmpx_gt_u32_e32 44, v86
	s_cbranch_execz .LBB0_14
; %bb.13:
	v_add_f64_e32 v[34:35], v[22:23], v[34:35]
	v_add_f64_e32 v[32:33], v[20:21], v[32:33]
	s_mov_b32 s1, 0xbfeca52d
	s_mov_b32 s0, s24
	;; [unrolled: 1-line block ×6, first 2 shown]
	s_delay_alu instid0(VALU_DEP_2) | instskip(NEXT) | instid1(VALU_DEP_2)
	v_add_f64_e32 v[34:35], v[34:35], v[42:43]
	v_add_f64_e32 v[32:33], v[32:33], v[40:41]
	v_mul_f64_e32 v[40:41], s[34:35], v[146:147]
	s_delay_alu instid0(VALU_DEP_3) | instskip(NEXT) | instid1(VALU_DEP_3)
	v_add_f64_e32 v[34:35], v[34:35], v[46:47]
	v_add_f64_e32 v[32:33], v[32:33], v[44:45]
	s_delay_alu instid0(VALU_DEP_2) | instskip(NEXT) | instid1(VALU_DEP_2)
	v_add_f64_e32 v[34:35], v[34:35], v[58:59]
	v_add_f64_e32 v[32:33], v[32:33], v[56:57]
	v_mul_f64_e32 v[56:57], s[50:51], v[116:117]
	v_mul_f64_e32 v[58:59], s[44:45], v[116:117]
	s_delay_alu instid0(VALU_DEP_4) | instskip(NEXT) | instid1(VALU_DEP_4)
	v_add_f64_e32 v[34:35], v[34:35], v[66:67]
	v_add_f64_e32 v[32:33], v[32:33], v[64:65]
	s_delay_alu instid0(VALU_DEP_4) | instskip(SKIP_1) | instid1(VALU_DEP_4)
	v_fma_f64 v[66:67], v[138:139], s[48:49], v[56:57]
	v_fma_f64 v[56:57], v[138:139], s[48:49], -v[56:57]
	v_add_f64_e32 v[34:35], v[34:35], v[70:71]
	s_delay_alu instid0(VALU_DEP_4)
	v_add_f64_e32 v[32:33], v[32:33], v[68:69]
	v_fma_f64 v[68:69], v[138:139], s[34:35], v[58:59]
	v_fma_f64 v[58:59], v[138:139], s[34:35], -v[58:59]
	v_add_f64_e32 v[56:57], v[20:21], v[56:57]
	v_add_f64_e32 v[34:35], v[34:35], v[78:79]
	;; [unrolled: 1-line block ×5, first 2 shown]
	s_delay_alu instid0(VALU_DEP_4) | instskip(NEXT) | instid1(VALU_DEP_4)
	v_add_f64_e32 v[34:35], v[34:35], v[82:83]
	v_add_f64_e32 v[32:33], v[32:33], v[80:81]
	v_mul_f64_e32 v[82:83], s[30:31], v[96:97]
	s_delay_alu instid0(VALU_DEP_3) | instskip(NEXT) | instid1(VALU_DEP_3)
	v_add_f64_e32 v[34:35], v[34:35], v[74:75]
	v_add_f64_e32 v[32:33], v[32:33], v[72:73]
	s_delay_alu instid0(VALU_DEP_3) | instskip(SKIP_1) | instid1(VALU_DEP_4)
	v_add_f64_e64 v[82:83], v[82:83], -v[162:163]
	v_mul_f64_e32 v[162:163], s[12:13], v[152:153]
	v_add_f64_e32 v[34:35], v[34:35], v[62:63]
	s_delay_alu instid0(VALU_DEP_4) | instskip(SKIP_2) | instid1(VALU_DEP_3)
	v_add_f64_e32 v[32:33], v[32:33], v[60:61]
	s_wait_alu 0xfffe
	v_mul_f64_e32 v[60:61], s[0:1], v[116:117]
	v_add_f64_e32 v[34:35], v[34:35], v[54:55]
	s_delay_alu instid0(VALU_DEP_3)
	v_add_f64_e32 v[32:33], v[32:33], v[52:53]
	v_mul_f64_e32 v[52:53], s[52:53], v[116:117]
	v_mul_f64_e32 v[54:55], s[42:43], v[116:117]
	;; [unrolled: 1-line block ×3, first 2 shown]
	v_fma_f64 v[70:71], v[138:139], s[30:31], v[60:61]
	v_fma_f64 v[60:61], v[138:139], s[30:31], -v[60:61]
	v_add_f64_e32 v[34:35], v[34:35], v[50:51]
	v_add_f64_e32 v[32:33], v[32:33], v[48:49]
	v_fma_f64 v[50:51], v[120:121], s[26:27], v[40:41]
	v_fma_f64 v[40:41], v[120:121], s[44:45], v[40:41]
	v_add_f64_e64 v[116:117], v[116:117], -v[178:179]
	v_fma_f64 v[62:63], v[138:139], s[28:29], v[52:53]
	v_fma_f64 v[52:53], v[138:139], s[28:29], -v[52:53]
	v_fma_f64 v[64:65], v[138:139], s[38:39], v[54:55]
	v_fma_f64 v[54:55], v[138:139], s[38:39], -v[54:55]
	v_add_f64_e32 v[70:71], v[20:21], v[70:71]
	v_add_f64_e32 v[60:61], v[20:21], v[60:61]
	;; [unrolled: 1-line block ×4, first 2 shown]
	v_mul_f64_e32 v[36:37], s[30:31], v[146:147]
	v_mul_f64_e32 v[38:39], s[48:49], v[146:147]
	v_add_f64_e32 v[78:79], v[22:23], v[50:51]
	v_mul_f64_e32 v[50:51], s[30:31], v[104:105]
	v_add_f64_e32 v[80:81], v[22:23], v[40:41]
	v_mul_f64_e32 v[40:41], s[38:39], v[118:119]
	v_add_f64_e32 v[62:63], v[20:21], v[62:63]
	v_add_f64_e32 v[52:53], v[20:21], v[52:53]
	v_add_f64_e32 v[64:65], v[20:21], v[64:65]
	;; [unrolled: 1-line block ×5, first 2 shown]
	v_fma_f64 v[46:47], v[120:121], s[24:25], v[36:37]
	v_fma_f64 v[48:49], v[120:121], s[40:41], v[38:39]
	v_fma_f64 v[38:39], v[120:121], s[50:51], v[38:39]
	v_add_f64_e32 v[50:51], v[166:167], v[50:51]
	v_mul_f64_e32 v[34:35], s[38:39], v[146:147]
	v_fma_f64 v[36:37], v[120:121], s[0:1], v[36:37]
	v_add_f64_e32 v[40:41], v[180:181], v[40:41]
	v_mul_f64_e32 v[32:33], s[28:29], v[146:147]
	v_add_f64_e32 v[26:27], v[30:31], v[26:27]
	v_add_f64_e32 v[24:25], v[28:29], v[24:25]
	;; [unrolled: 1-line block ×6, first 2 shown]
	v_mul_f64_e32 v[38:39], s[20:21], v[128:129]
	v_mul_f64_e32 v[28:29], s[20:21], v[146:147]
	;; [unrolled: 1-line block ×3, first 2 shown]
	v_fma_f64 v[44:45], v[120:121], s[46:47], v[34:35]
	v_fma_f64 v[34:35], v[120:121], s[42:43], v[34:35]
	v_add_f64_e32 v[76:77], v[22:23], v[36:37]
	v_mul_f64_e32 v[36:37], s[34:35], v[136:137]
	v_fma_f64 v[42:43], v[120:121], s[22:23], v[32:33]
	v_fma_f64 v[32:33], v[120:121], s[52:53], v[32:33]
	v_add_f64_e32 v[18:19], v[26:27], v[18:19]
	v_add_f64_e32 v[16:17], v[24:25], v[16:17]
	v_mul_f64_e32 v[24:25], s[18:19], v[146:147]
	v_mul_f64_e32 v[26:27], s[18:19], v[138:139]
	v_add_f64_e32 v[38:39], v[188:189], v[38:39]
	v_add_f64_e32 v[28:29], v[150:151], v[28:29]
	v_add_f64_e64 v[30:31], v[30:31], -v[148:149]
	v_add_f64_e32 v[44:45], v[22:23], v[44:45]
	v_add_f64_e32 v[72:73], v[22:23], v[34:35]
	v_mul_f64_e32 v[34:35], s[16:17], v[144:145]
	v_add_f64_e32 v[36:37], v[198:199], v[36:37]
	v_add_f64_e32 v[42:43], v[22:23], v[42:43]
	v_add_f64_e32 v[32:33], v[22:23], v[32:33]
	v_mul_f64_e32 v[150:151], s[20:21], v[156:157]
	v_add_f64_e32 v[24:25], v[168:169], v[24:25]
	v_add_f64_e64 v[26:27], v[26:27], -v[164:165]
	v_add_f64_e32 v[28:29], v[22:23], v[28:29]
	v_add_f64_e32 v[30:31], v[20:21], v[30:31]
	;; [unrolled: 1-line block ×5, first 2 shown]
	v_mul_f64_e32 v[22:23], s[48:49], v[154:155]
	v_mul_f64_e32 v[20:21], s[28:29], v[156:157]
	s_delay_alu instid0(VALU_DEP_4) | instskip(NEXT) | instid1(VALU_DEP_4)
	v_add_f64_e32 v[24:25], v[50:51], v[24:25]
	v_add_f64_e32 v[26:27], v[82:83], v[26:27]
	v_mul_f64_e32 v[50:51], s[20:21], v[106:107]
	v_mul_f64_e32 v[82:83], s[28:29], v[96:97]
	v_add_f64_e32 v[22:23], v[214:215], v[22:23]
	v_add_f64_e32 v[20:21], v[216:217], v[20:21]
	;; [unrolled: 1-line block ×4, first 2 shown]
	v_add_f64_e64 v[50:51], v[50:51], -v[184:185]
	v_mul_f64_e32 v[40:41], s[34:35], v[110:111]
	v_add_f64_e64 v[82:83], v[82:83], -v[158:159]
	v_mul_f64_e32 v[116:117], s[34:35], v[100:101]
	v_mul_f64_e32 v[158:159], s[2:3], v[152:153]
	v_add_f64_e32 v[24:25], v[38:39], v[24:25]
	v_mul_f64_e32 v[38:39], s[16:17], v[124:125]
	v_add_f64_e32 v[26:27], v[50:51], v[26:27]
	v_add_f64_e64 v[40:41], v[40:41], -v[192:193]
	v_mul_f64_e32 v[50:51], s[28:29], v[104:105]
	v_add_f64_e64 v[116:117], v[116:117], -v[170:171]
	v_add_f64_e32 v[30:31], v[82:83], v[30:31]
	v_add_f64_e32 v[24:25], v[36:37], v[24:25]
	v_add_f64_e64 v[38:39], v[38:39], -v[200:201]
	v_mul_f64_e32 v[36:37], s[48:49], v[130:131]
	v_add_f64_e32 v[26:27], v[40:41], v[26:27]
	v_mul_f64_e32 v[40:41], s[34:35], v[118:119]
	v_add_f64_e32 v[50:51], v[160:161], v[50:51]
	v_add_f64_e32 v[30:31], v[116:117], v[30:31]
	v_mul_f64_e32 v[160:161], s[16:17], v[156:157]
	v_add_f64_e32 v[24:25], v[34:35], v[24:25]
	v_mul_f64_e32 v[34:35], s[28:29], v[140:141]
	v_add_f64_e64 v[36:37], v[36:37], -v[208:209]
	v_add_f64_e32 v[26:27], v[38:39], v[26:27]
	v_mul_f64_e32 v[38:39], s[18:19], v[128:129]
	v_add_f64_e32 v[40:41], v[172:173], v[40:41]
	v_add_f64_e32 v[28:29], v[50:51], v[28:29]
	v_mul_f64_e32 v[50:51], s[18:19], v[106:107]
	v_add_f64_e32 v[22:23], v[22:23], v[24:25]
	v_add_f64_e64 v[34:35], v[34:35], -v[212:213]
	v_add_f64_e32 v[24:25], v[36:37], v[26:27]
	v_mul_f64_e32 v[36:37], s[38:39], v[136:137]
	v_add_f64_e32 v[38:39], v[176:177], v[38:39]
	v_add_f64_e32 v[28:29], v[40:41], v[28:29]
	v_add_f64_e64 v[50:51], v[50:51], -v[174:175]
	v_mul_f64_e32 v[40:41], s[38:39], v[110:111]
	v_mul_f64_e32 v[26:27], s[16:17], v[154:155]
	v_add_f64_e32 v[22:23], v[20:21], v[22:23]
	v_add_f64_e32 v[20:21], v[34:35], v[24:25]
	v_mul_f64_e32 v[34:35], s[48:49], v[144:145]
	v_add_f64_e32 v[36:37], v[186:187], v[36:37]
	v_add_f64_e32 v[28:29], v[38:39], v[28:29]
	;; [unrolled: 1-line block ×3, first 2 shown]
	v_add_f64_e64 v[40:41], v[40:41], -v[182:183]
	v_mul_f64_e32 v[38:39], s[48:49], v[124:125]
	v_mul_f64_e32 v[24:25], s[30:31], v[156:157]
	v_add_f64_e32 v[26:27], v[204:205], v[26:27]
	v_add_f64_e32 v[34:35], v[194:195], v[34:35]
	;; [unrolled: 1-line block ×3, first 2 shown]
	v_mul_f64_e32 v[36:37], s[16:17], v[130:131]
	v_add_f64_e32 v[30:31], v[40:41], v[30:31]
	v_add_f64_e64 v[38:39], v[38:39], -v[190:191]
	v_add_f64_e32 v[24:25], v[210:211], v[24:25]
	v_add_f64_e32 v[28:29], v[34:35], v[28:29]
	v_add_f64_e64 v[36:37], v[36:37], -v[196:197]
	v_mul_f64_e32 v[34:35], s[30:31], v[140:141]
	v_add_f64_e32 v[30:31], v[38:39], v[30:31]
	v_mul_f64_e32 v[38:39], s[48:49], v[118:119]
	v_add_f64_e32 v[26:27], v[26:27], v[28:29]
	s_delay_alu instid0(VALU_DEP_4) | instskip(NEXT) | instid1(VALU_DEP_4)
	v_add_f64_e64 v[34:35], v[34:35], -v[202:203]
	v_add_f64_e32 v[28:29], v[36:37], v[30:31]
	v_mul_f64_e32 v[36:37], s[54:55], v[92:93]
	v_fma_f64 v[40:41], v[94:95], s[50:51], v[38:39]
	v_add_f64_e32 v[26:27], v[24:25], v[26:27]
	s_delay_alu instid0(VALU_DEP_4) | instskip(SKIP_2) | instid1(VALU_DEP_2)
	v_add_f64_e32 v[24:25], v[34:35], v[28:29]
	v_mul_f64_e32 v[34:35], s[18:19], v[104:105]
	v_fma_f64 v[30:31], v[96:97], s[18:19], v[36:37]
	v_fma_f64 v[28:29], v[90:91], s[4:5], v[34:35]
	s_delay_alu instid0(VALU_DEP_2) | instskip(SKIP_1) | instid1(VALU_DEP_3)
	v_add_f64_e32 v[30:31], v[30:31], v[62:63]
	v_fma_f64 v[34:35], v[90:91], s[54:55], v[34:35]
	v_add_f64_e32 v[28:29], v[28:29], v[42:43]
	s_delay_alu instid0(VALU_DEP_2)
	v_add_f64_e32 v[32:33], v[34:35], v[32:33]
	v_fma_f64 v[34:35], v[96:97], s[18:19], -v[36:37]
	v_fma_f64 v[36:37], v[94:95], s[40:41], v[38:39]
	v_fma_f64 v[38:39], v[140:141], s[20:21], -v[158:159]
	v_add_f64_e32 v[28:29], v[40:41], v[28:29]
	v_mul_f64_e32 v[40:41], s[40:41], v[98:99]
	v_add_f64_e32 v[34:35], v[34:35], v[52:53]
	v_add_f64_e32 v[32:33], v[36:37], v[32:33]
	s_delay_alu instid0(VALU_DEP_3) | instskip(SKIP_2) | instid1(VALU_DEP_3)
	v_fma_f64 v[42:43], v[100:101], s[48:49], v[40:41]
	v_fma_f64 v[36:37], v[100:101], s[48:49], -v[40:41]
	v_mul_f64_e32 v[40:41], s[16:17], v[104:105]
	v_add_f64_e32 v[30:31], v[42:43], v[30:31]
	v_mul_f64_e32 v[42:43], s[30:31], v[128:129]
	s_delay_alu instid0(VALU_DEP_4) | instskip(NEXT) | instid1(VALU_DEP_2)
	v_add_f64_e32 v[34:35], v[36:37], v[34:35]
	v_fma_f64 v[50:51], v[102:103], s[24:25], v[42:43]
	v_fma_f64 v[36:37], v[102:103], s[0:1], v[42:43]
	v_mul_f64_e32 v[42:43], s[12:13], v[92:93]
	s_delay_alu instid0(VALU_DEP_3) | instskip(SKIP_1) | instid1(VALU_DEP_4)
	v_add_f64_e32 v[28:29], v[50:51], v[28:29]
	v_mul_f64_e32 v[50:51], s[0:1], v[114:115]
	v_add_f64_e32 v[32:33], v[36:37], v[32:33]
	s_delay_alu instid0(VALU_DEP_2) | instskip(SKIP_1) | instid1(VALU_DEP_2)
	v_fma_f64 v[62:63], v[106:107], s[30:31], v[50:51]
	v_fma_f64 v[36:37], v[106:107], s[30:31], -v[50:51]
	v_add_f64_e32 v[30:31], v[62:63], v[30:31]
	v_mul_f64_e32 v[62:63], s[16:17], v[136:137]
	s_delay_alu instid0(VALU_DEP_3) | instskip(NEXT) | instid1(VALU_DEP_2)
	v_add_f64_e32 v[34:35], v[36:37], v[34:35]
	v_fma_f64 v[82:83], v[108:109], s[56:57], v[62:63]
	v_fma_f64 v[36:37], v[108:109], s[12:13], v[62:63]
	s_delay_alu instid0(VALU_DEP_2) | instskip(SKIP_1) | instid1(VALU_DEP_3)
	v_add_f64_e32 v[28:29], v[82:83], v[28:29]
	v_mul_f64_e32 v[82:83], s[12:13], v[122:123]
	v_add_f64_e32 v[32:33], v[36:37], v[32:33]
	s_delay_alu instid0(VALU_DEP_2) | instskip(SKIP_1) | instid1(VALU_DEP_2)
	v_fma_f64 v[116:117], v[110:111], s[16:17], v[82:83]
	v_fma_f64 v[36:37], v[110:111], s[16:17], -v[82:83]
	v_add_f64_e32 v[30:31], v[116:117], v[30:31]
	v_mul_f64_e32 v[116:117], s[38:39], v[144:145]
	s_delay_alu instid0(VALU_DEP_3) | instskip(NEXT) | instid1(VALU_DEP_2)
	v_add_f64_e32 v[34:35], v[36:37], v[34:35]
	v_fma_f64 v[120:121], v[112:113], s[42:43], v[116:117]
	v_fma_f64 v[36:37], v[112:113], s[46:47], v[116:117]
	s_delay_alu instid0(VALU_DEP_2) | instskip(SKIP_1) | instid1(VALU_DEP_3)
	;; [unrolled: 13-line block ×3, first 2 shown]
	v_add_f64_e32 v[28:29], v[146:147], v[28:29]
	v_mul_f64_e32 v[146:147], s[44:45], v[142:143]
	v_add_f64_e32 v[32:33], v[36:37], v[32:33]
	s_delay_alu instid0(VALU_DEP_2) | instskip(SKIP_1) | instid1(VALU_DEP_2)
	v_fma_f64 v[36:37], v[130:131], s[34:35], -v[146:147]
	v_fma_f64 v[148:149], v[130:131], s[34:35], v[146:147]
	v_add_f64_e32 v[36:37], v[36:37], v[34:35]
	v_fma_f64 v[34:35], v[132:133], s[2:3], v[150:151]
	s_delay_alu instid0(VALU_DEP_3) | instskip(SKIP_2) | instid1(VALU_DEP_4)
	v_add_f64_e32 v[148:149], v[148:149], v[30:31]
	v_fma_f64 v[30:31], v[132:133], s[36:37], v[150:151]
	v_mul_f64_e32 v[150:151], s[48:49], v[156:157]
	v_add_f64_e32 v[34:35], v[34:35], v[32:33]
	v_add_f64_e32 v[32:33], v[38:39], v[36:37]
	v_fma_f64 v[36:37], v[90:91], s[56:57], v[40:41]
	v_fma_f64 v[38:39], v[96:97], s[16:17], v[42:43]
	;; [unrolled: 1-line block ×3, first 2 shown]
	v_fma_f64 v[42:43], v[96:97], s[16:17], -v[42:43]
	v_add_f64_e32 v[30:31], v[30:31], v[28:29]
	v_fma_f64 v[28:29], v[140:141], s[20:21], v[158:159]
	v_mul_f64_e32 v[158:159], s[40:41], v[152:153]
	v_add_f64_e32 v[36:37], v[36:37], v[44:45]
	v_mul_f64_e32 v[44:45], s[28:29], v[118:119]
	v_add_f64_e32 v[38:39], v[38:39], v[64:65]
	v_add_f64_e32 v[40:41], v[40:41], v[72:73]
	;; [unrolled: 1-line block ×4, first 2 shown]
	v_fma_f64 v[50:51], v[94:95], s[52:53], v[44:45]
	v_fma_f64 v[44:45], v[94:95], s[22:23], v[44:45]
	s_delay_alu instid0(VALU_DEP_2) | instskip(SKIP_1) | instid1(VALU_DEP_3)
	v_add_f64_e32 v[36:37], v[50:51], v[36:37]
	v_mul_f64_e32 v[50:51], s[22:23], v[98:99]
	v_add_f64_e32 v[40:41], v[44:45], v[40:41]
	s_delay_alu instid0(VALU_DEP_2) | instskip(SKIP_2) | instid1(VALU_DEP_3)
	v_fma_f64 v[52:53], v[100:101], s[28:29], v[50:51]
	v_fma_f64 v[44:45], v[100:101], s[28:29], -v[50:51]
	v_fma_f64 v[50:51], v[140:141], s[48:49], -v[158:159]
	v_add_f64_e32 v[38:39], v[52:53], v[38:39]
	v_mul_f64_e32 v[52:53], s[34:35], v[128:129]
	s_delay_alu instid0(VALU_DEP_4) | instskip(NEXT) | instid1(VALU_DEP_2)
	v_add_f64_e32 v[42:43], v[44:45], v[42:43]
	v_fma_f64 v[62:63], v[102:103], s[44:45], v[52:53]
	v_fma_f64 v[44:45], v[102:103], s[26:27], v[52:53]
	v_mul_f64_e32 v[52:53], s[42:43], v[92:93]
	s_delay_alu instid0(VALU_DEP_3) | instskip(SKIP_1) | instid1(VALU_DEP_4)
	v_add_f64_e32 v[36:37], v[62:63], v[36:37]
	v_mul_f64_e32 v[62:63], s[26:27], v[114:115]
	v_add_f64_e32 v[40:41], v[44:45], v[40:41]
	s_delay_alu instid0(VALU_DEP_2) | instskip(SKIP_1) | instid1(VALU_DEP_2)
	v_fma_f64 v[64:65], v[106:107], s[34:35], v[62:63]
	v_fma_f64 v[44:45], v[106:107], s[34:35], -v[62:63]
	v_add_f64_e32 v[38:39], v[64:65], v[38:39]
	v_mul_f64_e32 v[64:65], s[30:31], v[136:137]
	s_delay_alu instid0(VALU_DEP_3) | instskip(NEXT) | instid1(VALU_DEP_2)
	v_add_f64_e32 v[42:43], v[44:45], v[42:43]
	v_fma_f64 v[82:83], v[108:109], s[24:25], v[64:65]
	v_fma_f64 v[44:45], v[108:109], s[0:1], v[64:65]
	s_delay_alu instid0(VALU_DEP_2) | instskip(SKIP_1) | instid1(VALU_DEP_3)
	v_add_f64_e32 v[36:37], v[82:83], v[36:37]
	v_mul_f64_e32 v[82:83], s[0:1], v[122:123]
	v_add_f64_e32 v[40:41], v[44:45], v[40:41]
	s_delay_alu instid0(VALU_DEP_2) | instskip(SKIP_1) | instid1(VALU_DEP_2)
	v_fma_f64 v[116:117], v[110:111], s[30:31], v[82:83]
	v_fma_f64 v[44:45], v[110:111], s[30:31], -v[82:83]
	v_add_f64_e32 v[38:39], v[116:117], v[38:39]
	v_mul_f64_e32 v[116:117], s[18:19], v[144:145]
	s_delay_alu instid0(VALU_DEP_3) | instskip(NEXT) | instid1(VALU_DEP_2)
	v_add_f64_e32 v[42:43], v[44:45], v[42:43]
	v_fma_f64 v[120:121], v[112:113], s[54:55], v[116:117]
	v_fma_f64 v[44:45], v[112:113], s[4:5], v[116:117]
	s_delay_alu instid0(VALU_DEP_2) | instskip(SKIP_1) | instid1(VALU_DEP_3)
	;; [unrolled: 13-line block ×3, first 2 shown]
	v_add_f64_e32 v[36:37], v[146:147], v[36:37]
	v_mul_f64_e32 v[146:147], s[36:37], v[142:143]
	v_add_f64_e32 v[40:41], v[44:45], v[40:41]
	s_delay_alu instid0(VALU_DEP_2) | instskip(SKIP_1) | instid1(VALU_DEP_2)
	v_fma_f64 v[44:45], v[130:131], s[20:21], -v[146:147]
	v_fma_f64 v[148:149], v[130:131], s[20:21], v[146:147]
	v_add_f64_e32 v[44:45], v[44:45], v[42:43]
	v_fma_f64 v[42:43], v[132:133], s[40:41], v[150:151]
	s_delay_alu instid0(VALU_DEP_3) | instskip(SKIP_2) | instid1(VALU_DEP_4)
	v_add_f64_e32 v[148:149], v[148:149], v[38:39]
	v_fma_f64 v[38:39], v[132:133], s[50:51], v[150:151]
	v_mul_f64_e32 v[150:151], s[34:35], v[156:157]
	v_add_f64_e32 v[42:43], v[42:43], v[40:41]
	v_add_f64_e32 v[40:41], v[50:51], v[44:45]
	v_mul_f64_e32 v[50:51], s[38:39], v[104:105]
	v_add_f64_e32 v[38:39], v[38:39], v[36:37]
	v_fma_f64 v[36:37], v[140:141], s[48:49], v[158:159]
	v_mul_f64_e32 v[158:159], s[26:27], v[152:153]
	v_mul_f64_e32 v[152:153], s[4:5], v[152:153]
	v_fma_f64 v[44:45], v[90:91], s[46:47], v[50:51]
	v_fma_f64 v[50:51], v[90:91], s[42:43], v[50:51]
	v_add_f64_e32 v[36:37], v[36:37], v[148:149]
	s_delay_alu instid0(VALU_DEP_3) | instskip(SKIP_1) | instid1(VALU_DEP_4)
	v_add_f64_e32 v[44:45], v[44:45], v[46:47]
	v_fma_f64 v[46:47], v[96:97], s[38:39], v[52:53]
	v_add_f64_e32 v[50:51], v[50:51], v[66:67]
	v_fma_f64 v[52:53], v[96:97], s[38:39], -v[52:53]
	v_mul_f64_e32 v[66:67], s[50:51], v[92:93]
	s_delay_alu instid0(VALU_DEP_4) | instskip(SKIP_1) | instid1(VALU_DEP_4)
	v_add_f64_e32 v[46:47], v[46:47], v[48:49]
	v_mul_f64_e32 v[48:49], s[20:21], v[118:119]
	v_add_f64_e32 v[52:53], v[52:53], v[56:57]
	s_delay_alu instid0(VALU_DEP_2) | instskip(SKIP_1) | instid1(VALU_DEP_2)
	v_fma_f64 v[54:55], v[94:95], s[36:37], v[48:49]
	v_fma_f64 v[48:49], v[94:95], s[2:3], v[48:49]
	v_add_f64_e32 v[44:45], v[54:55], v[44:45]
	v_mul_f64_e32 v[54:55], s[2:3], v[98:99]
	s_delay_alu instid0(VALU_DEP_3) | instskip(NEXT) | instid1(VALU_DEP_2)
	v_add_f64_e32 v[48:49], v[48:49], v[50:51]
	v_fma_f64 v[62:63], v[100:101], s[20:21], v[54:55]
	v_fma_f64 v[50:51], v[100:101], s[20:21], -v[54:55]
	v_fma_f64 v[54:55], v[140:141], s[34:35], -v[158:159]
	s_delay_alu instid0(VALU_DEP_3) | instskip(SKIP_1) | instid1(VALU_DEP_4)
	v_add_f64_e32 v[46:47], v[62:63], v[46:47]
	v_mul_f64_e32 v[62:63], s[16:17], v[128:129]
	v_add_f64_e32 v[50:51], v[50:51], v[52:53]
	s_delay_alu instid0(VALU_DEP_2) | instskip(SKIP_2) | instid1(VALU_DEP_3)
	v_fma_f64 v[64:65], v[102:103], s[56:57], v[62:63]
	v_fma_f64 v[52:53], v[102:103], s[12:13], v[62:63]
	v_mul_f64_e32 v[62:63], s[20:21], v[104:105]
	v_add_f64_e32 v[44:45], v[64:65], v[44:45]
	v_mul_f64_e32 v[64:65], s[12:13], v[114:115]
	s_delay_alu instid0(VALU_DEP_4) | instskip(NEXT) | instid1(VALU_DEP_2)
	v_add_f64_e32 v[48:49], v[52:53], v[48:49]
	v_fma_f64 v[72:73], v[106:107], s[16:17], v[64:65]
	v_fma_f64 v[52:53], v[106:107], s[16:17], -v[64:65]
	v_mul_f64_e32 v[64:65], s[48:49], v[104:105]
	s_delay_alu instid0(VALU_DEP_3) | instskip(SKIP_1) | instid1(VALU_DEP_4)
	v_add_f64_e32 v[46:47], v[72:73], v[46:47]
	v_mul_f64_e32 v[72:73], s[18:19], v[136:137]
	v_add_f64_e32 v[50:51], v[52:53], v[50:51]
	s_delay_alu instid0(VALU_DEP_2) | instskip(SKIP_2) | instid1(VALU_DEP_3)
	v_fma_f64 v[82:83], v[108:109], s[4:5], v[72:73]
	v_fma_f64 v[52:53], v[108:109], s[54:55], v[72:73]
	v_mul_f64_e32 v[72:73], s[30:31], v[118:119]
	v_add_f64_e32 v[44:45], v[82:83], v[44:45]
	v_mul_f64_e32 v[82:83], s[54:55], v[122:123]
	s_delay_alu instid0(VALU_DEP_4) | instskip(NEXT) | instid1(VALU_DEP_4)
	v_add_f64_e32 v[48:49], v[52:53], v[48:49]
	v_fma_f64 v[56:57], v[94:95], s[0:1], v[72:73]
	s_delay_alu instid0(VALU_DEP_3) | instskip(SKIP_2) | instid1(VALU_DEP_3)
	v_fma_f64 v[116:117], v[110:111], s[18:19], v[82:83]
	v_fma_f64 v[52:53], v[110:111], s[18:19], -v[82:83]
	v_mul_f64_e32 v[82:83], s[38:39], v[128:129]
	v_add_f64_e32 v[46:47], v[116:117], v[46:47]
	v_mul_f64_e32 v[116:117], s[28:29], v[144:145]
	s_delay_alu instid0(VALU_DEP_4) | instskip(NEXT) | instid1(VALU_DEP_2)
	v_add_f64_e32 v[50:51], v[52:53], v[50:51]
	v_fma_f64 v[120:121], v[112:113], s[52:53], v[116:117]
	v_fma_f64 v[52:53], v[112:113], s[22:23], v[116:117]
	v_mul_f64_e32 v[116:117], s[42:43], v[114:115]
	s_delay_alu instid0(VALU_DEP_3) | instskip(SKIP_1) | instid1(VALU_DEP_4)
	v_add_f64_e32 v[44:45], v[120:121], v[44:45]
	v_mul_f64_e32 v[120:121], s[22:23], v[134:135]
	v_add_f64_e32 v[48:49], v[52:53], v[48:49]
	s_delay_alu instid0(VALU_DEP_2) | instskip(SKIP_2) | instid1(VALU_DEP_3)
	v_fma_f64 v[138:139], v[124:125], s[28:29], v[120:121]
	v_fma_f64 v[52:53], v[124:125], s[28:29], -v[120:121]
	v_mul_f64_e32 v[120:121], s[28:29], v[136:137]
	v_add_f64_e32 v[46:47], v[138:139], v[46:47]
	v_mul_f64_e32 v[138:139], s[30:31], v[154:155]
	s_delay_alu instid0(VALU_DEP_4) | instskip(NEXT) | instid1(VALU_DEP_2)
	v_add_f64_e32 v[50:51], v[52:53], v[50:51]
	v_fma_f64 v[146:147], v[126:127], s[0:1], v[138:139]
	v_fma_f64 v[52:53], v[126:127], s[24:25], v[138:139]
	v_mul_f64_e32 v[138:139], s[52:53], v[122:123]
	s_delay_alu instid0(VALU_DEP_3) | instskip(SKIP_1) | instid1(VALU_DEP_4)
	v_add_f64_e32 v[44:45], v[146:147], v[44:45]
	v_mul_f64_e32 v[146:147], s[24:25], v[142:143]
	v_add_f64_e32 v[48:49], v[52:53], v[48:49]
	s_delay_alu instid0(VALU_DEP_2) | instskip(SKIP_2) | instid1(VALU_DEP_3)
	v_fma_f64 v[52:53], v[130:131], s[30:31], -v[146:147]
	v_fma_f64 v[148:149], v[130:131], s[30:31], v[146:147]
	v_mul_f64_e32 v[146:147], s[20:21], v[144:145]
	v_add_f64_e32 v[52:53], v[52:53], v[50:51]
	v_fma_f64 v[50:51], v[132:133], s[26:27], v[150:151]
	s_delay_alu instid0(VALU_DEP_4) | instskip(SKIP_2) | instid1(VALU_DEP_4)
	v_add_f64_e32 v[148:149], v[148:149], v[46:47]
	v_fma_f64 v[46:47], v[132:133], s[44:45], v[150:151]
	v_mul_f64_e32 v[150:151], s[18:19], v[154:155]
	v_add_f64_e32 v[50:51], v[50:51], v[48:49]
	v_add_f64_e32 v[48:49], v[54:55], v[52:53]
	v_fma_f64 v[52:53], v[90:91], s[50:51], v[64:65]
	v_fma_f64 v[54:55], v[96:97], s[48:49], -v[66:67]
	v_add_f64_e32 v[46:47], v[46:47], v[44:45]
	v_fma_f64 v[44:45], v[140:141], s[34:35], v[158:159]
	v_mul_f64_e32 v[158:159], s[4:5], v[142:143]
	v_fma_f64 v[64:65], v[90:91], s[40:41], v[64:65]
	v_fma_f64 v[66:67], v[96:97], s[48:49], v[66:67]
	v_add_f64_e32 v[52:53], v[52:53], v[80:81]
	v_mul_f64_e32 v[80:81], s[0:1], v[98:99]
	v_add_f64_e32 v[54:55], v[54:55], v[58:59]
	v_add_f64_e32 v[44:45], v[44:45], v[148:149]
	v_mul_f64_e32 v[148:149], s[2:3], v[134:135]
	v_add_f64_e32 v[64:65], v[64:65], v[78:79]
	v_add_f64_e32 v[66:67], v[66:67], v[68:69]
	v_fma_f64 v[68:69], v[102:103], s[46:47], v[82:83]
	v_add_f64_e32 v[52:53], v[56:57], v[52:53]
	v_fma_f64 v[56:57], v[100:101], s[30:31], -v[80:81]
	s_delay_alu instid0(VALU_DEP_1) | instskip(SKIP_1) | instid1(VALU_DEP_1)
	v_add_f64_e32 v[54:55], v[56:57], v[54:55]
	v_fma_f64 v[56:57], v[102:103], s[42:43], v[82:83]
	v_add_f64_e32 v[52:53], v[56:57], v[52:53]
	v_fma_f64 v[56:57], v[106:107], s[38:39], -v[116:117]
	s_delay_alu instid0(VALU_DEP_1) | instskip(SKIP_1) | instid1(VALU_DEP_1)
	v_add_f64_e32 v[54:55], v[56:57], v[54:55]
	v_fma_f64 v[56:57], v[108:109], s[52:53], v[120:121]
	v_add_f64_e32 v[52:53], v[56:57], v[52:53]
	v_fma_f64 v[56:57], v[110:111], s[28:29], -v[138:139]
	s_delay_alu instid0(VALU_DEP_1) | instskip(SKIP_1) | instid1(VALU_DEP_1)
	v_add_f64_e32 v[54:55], v[56:57], v[54:55]
	v_fma_f64 v[56:57], v[112:113], s[2:3], v[146:147]
	v_add_f64_e32 v[52:53], v[56:57], v[52:53]
	v_fma_f64 v[56:57], v[124:125], s[20:21], -v[148:149]
	s_delay_alu instid0(VALU_DEP_1) | instskip(SKIP_1) | instid1(VALU_DEP_1)
	v_add_f64_e32 v[54:55], v[56:57], v[54:55]
	v_fma_f64 v[56:57], v[126:127], s[4:5], v[150:151]
	v_add_f64_e32 v[52:53], v[56:57], v[52:53]
	v_fma_f64 v[56:57], v[130:131], s[18:19], -v[158:159]
	s_delay_alu instid0(VALU_DEP_1) | instskip(SKIP_1) | instid1(VALU_DEP_1)
	v_add_f64_e32 v[56:57], v[56:57], v[54:55]
	v_fma_f64 v[54:55], v[132:133], s[12:13], v[160:161]
	v_add_f64_e32 v[54:55], v[54:55], v[52:53]
	v_fma_f64 v[52:53], v[140:141], s[16:17], -v[162:163]
	s_delay_alu instid0(VALU_DEP_1) | instskip(SKIP_2) | instid1(VALU_DEP_2)
	v_add_f64_e32 v[52:53], v[52:53], v[56:57]
	v_fma_f64 v[56:57], v[90:91], s[2:3], v[62:63]
	v_fma_f64 v[62:63], v[90:91], s[36:37], v[62:63]
	v_add_f64_e32 v[56:57], v[56:57], v[76:77]
	v_mul_f64_e32 v[76:77], s[2:3], v[92:93]
	s_delay_alu instid0(VALU_DEP_3) | instskip(NEXT) | instid1(VALU_DEP_2)
	v_add_f64_e32 v[62:63], v[62:63], v[74:75]
	v_fma_f64 v[58:59], v[96:97], s[20:21], -v[76:77]
	v_fma_f64 v[74:75], v[96:97], s[20:21], v[76:77]
	s_delay_alu instid0(VALU_DEP_2) | instskip(SKIP_1) | instid1(VALU_DEP_3)
	v_add_f64_e32 v[58:59], v[58:59], v[60:61]
	v_mul_f64_e32 v[60:61], s[16:17], v[118:119]
	v_add_f64_e32 v[70:71], v[74:75], v[70:71]
	v_fma_f64 v[74:75], v[140:141], s[18:19], v[152:153]
	s_delay_alu instid0(VALU_DEP_3) | instskip(SKIP_1) | instid1(VALU_DEP_2)
	v_fma_f64 v[92:93], v[94:95], s[56:57], v[60:61]
	v_fma_f64 v[60:61], v[94:95], s[12:13], v[60:61]
	v_add_f64_e32 v[56:57], v[92:93], v[56:57]
	v_mul_f64_e32 v[92:93], s[56:57], v[98:99]
	s_delay_alu instid0(VALU_DEP_3) | instskip(NEXT) | instid1(VALU_DEP_2)
	v_add_f64_e32 v[60:61], v[60:61], v[62:63]
	v_fma_f64 v[98:99], v[100:101], s[16:17], -v[92:93]
	v_fma_f64 v[62:63], v[100:101], s[16:17], v[92:93]
	s_delay_alu instid0(VALU_DEP_2) | instskip(SKIP_1) | instid1(VALU_DEP_3)
	v_add_f64_e32 v[58:59], v[98:99], v[58:59]
	v_mul_f64_e32 v[98:99], s[28:29], v[128:129]
	v_add_f64_e32 v[62:63], v[62:63], v[70:71]
	s_delay_alu instid0(VALU_DEP_2) | instskip(SKIP_1) | instid1(VALU_DEP_2)
	v_fma_f64 v[104:105], v[102:103], s[22:23], v[98:99]
	v_fma_f64 v[70:71], v[102:103], s[52:53], v[98:99]
	v_add_f64_e32 v[56:57], v[104:105], v[56:57]
	v_mul_f64_e32 v[104:105], s[22:23], v[114:115]
	s_delay_alu instid0(VALU_DEP_3) | instskip(NEXT) | instid1(VALU_DEP_2)
	v_add_f64_e32 v[60:61], v[70:71], v[60:61]
	v_fma_f64 v[114:115], v[106:107], s[28:29], -v[104:105]
	v_fma_f64 v[70:71], v[106:107], s[28:29], v[104:105]
	s_delay_alu instid0(VALU_DEP_2) | instskip(SKIP_1) | instid1(VALU_DEP_3)
	v_add_f64_e32 v[58:59], v[114:115], v[58:59]
	v_mul_f64_e32 v[114:115], s[48:49], v[136:137]
	v_add_f64_e32 v[62:63], v[70:71], v[62:63]
	s_delay_alu instid0(VALU_DEP_2) | instskip(SKIP_1) | instid1(VALU_DEP_2)
	v_fma_f64 v[118:119], v[108:109], s[40:41], v[114:115]
	v_fma_f64 v[70:71], v[108:109], s[50:51], v[114:115]
	v_add_f64_e32 v[56:57], v[118:119], v[56:57]
	v_mul_f64_e32 v[118:119], s[40:41], v[122:123]
	s_delay_alu instid0(VALU_DEP_3) | instskip(NEXT) | instid1(VALU_DEP_2)
	v_add_f64_e32 v[60:61], v[70:71], v[60:61]
	v_fma_f64 v[122:123], v[110:111], s[48:49], -v[118:119]
	v_fma_f64 v[70:71], v[110:111], s[48:49], v[118:119]
	s_delay_alu instid0(VALU_DEP_2) | instskip(SKIP_1) | instid1(VALU_DEP_3)
	v_add_f64_e32 v[58:59], v[122:123], v[58:59]
	v_mul_f64_e32 v[122:123], s[34:35], v[144:145]
	v_add_f64_e32 v[62:63], v[70:71], v[62:63]
	v_mul_f64_e32 v[144:145], s[18:19], v[156:157]
	s_delay_alu instid0(VALU_DEP_3) | instskip(SKIP_1) | instid1(VALU_DEP_2)
	v_fma_f64 v[128:129], v[112:113], s[44:45], v[122:123]
	v_fma_f64 v[70:71], v[112:113], s[26:27], v[122:123]
	v_add_f64_e32 v[56:57], v[128:129], v[56:57]
	v_mul_f64_e32 v[128:129], s[44:45], v[134:135]
	s_delay_alu instid0(VALU_DEP_3) | instskip(NEXT) | instid1(VALU_DEP_2)
	v_add_f64_e32 v[60:61], v[70:71], v[60:61]
	v_fma_f64 v[134:135], v[124:125], s[34:35], -v[128:129]
	v_fma_f64 v[70:71], v[124:125], s[34:35], v[128:129]
	s_delay_alu instid0(VALU_DEP_2) | instskip(SKIP_1) | instid1(VALU_DEP_3)
	v_add_f64_e32 v[58:59], v[134:135], v[58:59]
	v_mul_f64_e32 v[134:135], s[38:39], v[154:155]
	v_add_f64_e32 v[62:63], v[70:71], v[62:63]
	s_delay_alu instid0(VALU_DEP_2) | instskip(SKIP_1) | instid1(VALU_DEP_2)
	v_fma_f64 v[136:137], v[126:127], s[42:43], v[134:135]
	v_fma_f64 v[70:71], v[126:127], s[46:47], v[134:135]
	v_add_f64_e32 v[56:57], v[136:137], v[56:57]
	v_mul_f64_e32 v[136:137], s[42:43], v[142:143]
	s_delay_alu instid0(VALU_DEP_3) | instskip(NEXT) | instid1(VALU_DEP_2)
	v_add_f64_e32 v[60:61], v[70:71], v[60:61]
	v_fma_f64 v[70:71], v[130:131], s[38:39], v[136:137]
	v_fma_f64 v[142:143], v[130:131], s[38:39], -v[136:137]
	s_delay_alu instid0(VALU_DEP_2) | instskip(SKIP_1) | instid1(VALU_DEP_3)
	v_add_f64_e32 v[70:71], v[70:71], v[62:63]
	v_fma_f64 v[62:63], v[132:133], s[54:55], v[144:145]
	v_add_f64_e32 v[142:143], v[142:143], v[58:59]
	v_fma_f64 v[58:59], v[132:133], s[4:5], v[144:145]
	s_delay_alu instid0(VALU_DEP_3)
	v_add_f64_e32 v[62:63], v[62:63], v[60:61]
	v_add_f64_e32 v[60:61], v[74:75], v[70:71]
	v_fma_f64 v[70:71], v[94:95], s[24:25], v[72:73]
	v_fma_f64 v[72:73], v[100:101], s[30:31], v[80:81]
	;; [unrolled: 1-line block ×3, first 2 shown]
	v_add_f64_e32 v[58:59], v[58:59], v[56:57]
	v_fma_f64 v[56:57], v[140:141], s[18:19], -v[152:153]
	v_add_f64_e32 v[64:65], v[70:71], v[64:65]
	v_add_f64_e32 v[66:67], v[72:73], v[66:67]
	v_fma_f64 v[70:71], v[108:109], s[22:23], v[120:121]
	v_fma_f64 v[72:73], v[110:111], s[28:29], v[138:139]
	v_add_f64_e32 v[56:57], v[56:57], v[142:143]
	v_add_f64_e32 v[64:65], v[68:69], v[64:65]
	;; [unrolled: 1-line block ×3, first 2 shown]
	v_fma_f64 v[68:69], v[112:113], s[36:37], v[146:147]
	v_fma_f64 v[74:75], v[124:125], s[20:21], v[148:149]
	s_delay_alu instid0(VALU_DEP_4) | instskip(NEXT) | instid1(VALU_DEP_4)
	v_add_f64_e32 v[64:65], v[70:71], v[64:65]
	v_add_f64_e32 v[66:67], v[72:73], v[66:67]
	v_fma_f64 v[70:71], v[126:127], s[54:55], v[150:151]
	v_fma_f64 v[72:73], v[130:131], s[18:19], v[158:159]
	s_delay_alu instid0(VALU_DEP_4) | instskip(NEXT) | instid1(VALU_DEP_4)
	v_add_f64_e32 v[64:65], v[68:69], v[64:65]
	v_add_f64_e32 v[66:67], v[74:75], v[66:67]
	;; [unrolled: 5-line block ×3, first 2 shown]
	s_delay_alu instid0(VALU_DEP_2) | instskip(NEXT) | instid1(VALU_DEP_2)
	v_add_f64_e32 v[66:67], v[68:69], v[64:65]
	v_add_f64_e32 v[64:65], v[74:75], v[70:71]
	v_mul_u32_u24_e32 v68, 0x110, v86
	s_delay_alu instid0(VALU_DEP_1)
	v_add3_u32 v68, 0, v68, v221
	ds_store_b128 v68, v[40:43] offset:64
	ds_store_b128 v68, v[32:35] offset:80
	;; [unrolled: 1-line block ×15, first 2 shown]
	ds_store_b128 v68, v[16:19]
	ds_store_b128 v68, v[64:67] offset:256
.LBB0_14:
	s_or_b32 exec_lo, exec_lo, s33
	global_wb scope:SCOPE_SE
	s_wait_dscnt 0x0
	s_barrier_signal -1
	s_barrier_wait -1
	global_inv scope:SCOPE_SE
	ds_load_b128 v[16:19], v219
	ds_load_b128 v[20:23], v220 offset:1088
	ds_load_b128 v[36:39], v220 offset:2992
	;; [unrolled: 1-line block ×7, first 2 shown]
	v_cmp_gt_u32_e64 s0, 51, v86
	s_wait_alu 0xfffe
	s_add_nc_u64 s[2:3], s[14:15], s[10:11]
	s_delay_alu instid0(VALU_DEP_1)
	s_and_saveexec_b32 s1, s0
	s_cbranch_execz .LBB0_16
; %bb.15:
	ds_load_b128 v[0:3], v220 offset:2176
	ds_load_b128 v[4:7], v220 offset:5168
	;; [unrolled: 1-line block ×4, first 2 shown]
.LBB0_16:
	s_wait_alu 0xfffe
	s_or_b32 exec_lo, exec_lo, s1
	v_and_b32_e32 v48, 0xff, v86
	v_add_nc_u16 v49, v86, 0x44
	s_delay_alu instid0(VALU_DEP_2) | instskip(NEXT) | instid1(VALU_DEP_2)
	v_mul_lo_u16 v48, 0xf1, v48
	v_and_b32_e32 v50, 0xff, v49
	s_delay_alu instid0(VALU_DEP_2) | instskip(NEXT) | instid1(VALU_DEP_2)
	v_lshrrev_b16 v90, 12, v48
	v_mul_lo_u16 v48, 0xf1, v50
	s_delay_alu instid0(VALU_DEP_2) | instskip(NEXT) | instid1(VALU_DEP_2)
	v_mul_lo_u16 v50, v90, 17
	v_lshrrev_b16 v91, 12, v48
	s_delay_alu instid0(VALU_DEP_2) | instskip(NEXT) | instid1(VALU_DEP_2)
	v_sub_nc_u16 v48, v86, v50
	v_mul_lo_u16 v50, v91, 17
	s_delay_alu instid0(VALU_DEP_2) | instskip(NEXT) | instid1(VALU_DEP_2)
	v_and_b32_e32 v92, 0xff, v48
	v_sub_nc_u16 v48, v49, v50
	s_delay_alu instid0(VALU_DEP_2) | instskip(NEXT) | instid1(VALU_DEP_2)
	v_mul_u32_u24_e32 v49, 3, v92
	v_and_b32_e32 v93, 0xff, v48
	s_delay_alu instid0(VALU_DEP_2) | instskip(NEXT) | instid1(VALU_DEP_2)
	v_lshlrev_b32_e32 v56, 4, v49
	v_mul_u32_u24_e32 v52, 3, v93
	global_load_b128 v[48:51], v56, s[8:9]
	v_lshlrev_b32_e32 v68, 4, v52
	s_clause 0x4
	global_load_b128 v[52:55], v56, s[8:9] offset:16
	global_load_b128 v[56:59], v56, s[8:9] offset:32
	global_load_b128 v[60:63], v68, s[8:9]
	global_load_b128 v[64:67], v68, s[8:9] offset:16
	global_load_b128 v[68:71], v68, s[8:9] offset:32
	s_load_b64 s[2:3], s[2:3], 0x0
	global_wb scope:SCOPE_SE
	s_wait_loadcnt_dscnt 0x0
	s_wait_kmcnt 0x0
	s_barrier_signal -1
	s_barrier_wait -1
	global_inv scope:SCOPE_SE
	v_mul_f64_e32 v[74:75], v[42:43], v[54:55]
	v_mul_f64_e32 v[72:73], v[38:39], v[50:51]
	;; [unrolled: 1-line block ×12, first 2 shown]
	v_fma_f64 v[40:41], v[40:41], v[52:53], -v[74:75]
	v_fma_f64 v[36:37], v[36:37], v[48:49], -v[72:73]
	v_fma_f64 v[38:39], v[38:39], v[48:49], v[50:51]
	v_fma_f64 v[42:43], v[42:43], v[52:53], v[54:55]
	v_fma_f64 v[44:45], v[44:45], v[56:57], -v[76:77]
	v_fma_f64 v[46:47], v[46:47], v[56:57], v[58:59]
	v_fma_f64 v[24:25], v[24:25], v[60:61], -v[78:79]
	v_fma_f64 v[26:27], v[26:27], v[60:61], v[62:63]
	v_fma_f64 v[28:29], v[28:29], v[64:65], -v[80:81]
	v_fma_f64 v[30:31], v[30:31], v[64:65], v[66:67]
	v_fma_f64 v[32:33], v[32:33], v[68:69], -v[82:83]
	v_fma_f64 v[34:35], v[34:35], v[68:69], v[70:71]
	v_add_f64_e64 v[40:41], v[16:17], -v[40:41]
	v_add_f64_e64 v[42:43], v[18:19], -v[42:43]
	;; [unrolled: 1-line block ×8, first 2 shown]
	v_fma_f64 v[52:53], v[16:17], 2.0, -v[40:41]
	v_fma_f64 v[54:55], v[18:19], 2.0, -v[42:43]
	;; [unrolled: 1-line block ×4, first 2 shown]
	v_add_f64_e64 v[16:17], v[40:41], -v[46:47]
	v_add_f64_e32 v[18:19], v[42:43], v[44:45]
	v_fma_f64 v[38:39], v[20:21], 2.0, -v[48:49]
	v_fma_f64 v[56:57], v[22:23], 2.0, -v[50:51]
	;; [unrolled: 1-line block ×4, first 2 shown]
	v_add_f64_e64 v[20:21], v[48:49], -v[28:29]
	v_add_f64_e64 v[24:25], v[52:53], -v[30:31]
	;; [unrolled: 1-line block ×3, first 2 shown]
	v_fma_f64 v[34:35], v[42:43], 2.0, -v[18:19]
	v_add_f64_e64 v[28:29], v[38:39], -v[22:23]
	v_add_f64_e64 v[30:31], v[56:57], -v[36:37]
	v_add_f64_e32 v[22:23], v[50:51], v[32:33]
	v_fma_f64 v[32:33], v[40:41], 2.0, -v[16:17]
	v_fma_f64 v[36:37], v[48:49], 2.0, -v[20:21]
	v_and_b32_e32 v48, 0xffff, v90
	v_and_b32_e32 v49, 0xffff, v91
	s_delay_alu instid0(VALU_DEP_2) | instskip(NEXT) | instid1(VALU_DEP_2)
	v_mad_u32_u24 v48, 0x440, v48, 0
	v_mad_u32_u24 v49, 0x440, v49, 0
	v_fma_f64 v[40:41], v[52:53], 2.0, -v[24:25]
	v_fma_f64 v[42:43], v[54:55], 2.0, -v[26:27]
	v_fma_f64 v[44:45], v[38:39], 2.0, -v[28:29]
	v_fma_f64 v[46:47], v[56:57], 2.0, -v[30:31]
	v_fma_f64 v[38:39], v[50:51], 2.0, -v[22:23]
	v_lshlrev_b32_e32 v50, 4, v92
	v_lshlrev_b32_e32 v51, 4, v93
	s_delay_alu instid0(VALU_DEP_2) | instskip(NEXT) | instid1(VALU_DEP_2)
	v_add3_u32 v48, v48, v50, v221
	v_add3_u32 v49, v49, v51, v221
	ds_store_b128 v48, v[24:27] offset:544
	ds_store_b128 v48, v[16:19] offset:816
	ds_store_b128 v48, v[40:43]
	ds_store_b128 v48, v[32:35] offset:272
	ds_store_b128 v49, v[44:47]
	ds_store_b128 v49, v[36:39] offset:272
	ds_store_b128 v49, v[28:31] offset:544
	;; [unrolled: 1-line block ×3, first 2 shown]
	s_and_saveexec_b32 s1, s0
	s_cbranch_execz .LBB0_18
; %bb.17:
	v_add_nc_u16 v16, v86, 0x88
	s_delay_alu instid0(VALU_DEP_1) | instskip(NEXT) | instid1(VALU_DEP_1)
	v_and_b32_e32 v17, 0xff, v16
	v_mul_lo_u16 v17, 0xf1, v17
	s_delay_alu instid0(VALU_DEP_1) | instskip(NEXT) | instid1(VALU_DEP_1)
	v_lshrrev_b16 v34, 12, v17
	v_mul_lo_u16 v17, v34, 17
	s_delay_alu instid0(VALU_DEP_1) | instskip(NEXT) | instid1(VALU_DEP_1)
	v_sub_nc_u16 v16, v16, v17
	v_and_b32_e32 v35, 0xff, v16
	s_delay_alu instid0(VALU_DEP_1) | instskip(NEXT) | instid1(VALU_DEP_1)
	v_mul_u32_u24_e32 v16, 3, v35
	v_lshlrev_b32_e32 v24, 4, v16
	s_clause 0x2
	global_load_b128 v[16:19], v24, s[8:9] offset:16
	global_load_b128 v[20:23], v24, s[8:9]
	global_load_b128 v[24:27], v24, s[8:9] offset:32
	s_wait_loadcnt 0x2
	v_mul_f64_e32 v[28:29], v[8:9], v[18:19]
	s_wait_loadcnt 0x1
	v_mul_f64_e32 v[30:31], v[6:7], v[22:23]
	v_mul_f64_e32 v[22:23], v[4:5], v[22:23]
	s_wait_loadcnt 0x0
	v_mul_f64_e32 v[32:33], v[12:13], v[26:27]
	v_mul_f64_e32 v[18:19], v[10:11], v[18:19]
	;; [unrolled: 1-line block ×3, first 2 shown]
	v_fma_f64 v[10:11], v[10:11], v[16:17], v[28:29]
	v_fma_f64 v[4:5], v[4:5], v[20:21], -v[30:31]
	v_fma_f64 v[6:7], v[6:7], v[20:21], v[22:23]
	v_fma_f64 v[14:15], v[14:15], v[24:25], v[32:33]
	v_fma_f64 v[8:9], v[8:9], v[16:17], -v[18:19]
	v_fma_f64 v[12:13], v[12:13], v[24:25], -v[26:27]
	v_add_f64_e64 v[10:11], v[2:3], -v[10:11]
	s_delay_alu instid0(VALU_DEP_4) | instskip(NEXT) | instid1(VALU_DEP_4)
	v_add_f64_e64 v[14:15], v[6:7], -v[14:15]
	v_add_f64_e64 v[8:9], v[0:1], -v[8:9]
	s_delay_alu instid0(VALU_DEP_4) | instskip(NEXT) | instid1(VALU_DEP_4)
	v_add_f64_e64 v[12:13], v[4:5], -v[12:13]
	v_fma_f64 v[16:17], v[2:3], 2.0, -v[10:11]
	s_delay_alu instid0(VALU_DEP_4) | instskip(NEXT) | instid1(VALU_DEP_4)
	v_fma_f64 v[6:7], v[6:7], 2.0, -v[14:15]
	v_fma_f64 v[18:19], v[0:1], 2.0, -v[8:9]
	s_delay_alu instid0(VALU_DEP_4) | instskip(SKIP_1) | instid1(VALU_DEP_4)
	v_fma_f64 v[0:1], v[4:5], 2.0, -v[12:13]
	v_add_f64_e32 v[2:3], v[10:11], v[12:13]
	v_add_f64_e64 v[6:7], v[16:17], -v[6:7]
	s_delay_alu instid0(VALU_DEP_3) | instskip(SKIP_1) | instid1(VALU_DEP_4)
	v_add_f64_e64 v[4:5], v[18:19], -v[0:1]
	v_add_f64_e64 v[0:1], v[8:9], -v[14:15]
	v_fma_f64 v[10:11], v[10:11], 2.0, -v[2:3]
	s_delay_alu instid0(VALU_DEP_4) | instskip(SKIP_4) | instid1(VALU_DEP_4)
	v_fma_f64 v[14:15], v[16:17], 2.0, -v[6:7]
	v_and_b32_e32 v16, 0xffff, v34
	v_fma_f64 v[12:13], v[18:19], 2.0, -v[4:5]
	v_fma_f64 v[8:9], v[8:9], 2.0, -v[0:1]
	v_lshlrev_b32_e32 v17, 4, v35
	v_mad_u32_u24 v16, 0x440, v16, 0
	s_delay_alu instid0(VALU_DEP_1)
	v_add3_u32 v16, v16, v17, v221
	ds_store_b128 v16, v[12:15]
	ds_store_b128 v16, v[8:11] offset:272
	ds_store_b128 v16, v[4:7] offset:544
	;; [unrolled: 1-line block ×3, first 2 shown]
.LBB0_18:
	s_wait_alu 0xfffe
	s_or_b32 exec_lo, exec_lo, s1
	v_mul_u32_u24_e32 v0, 10, v86
	global_wb scope:SCOPE_SE
	s_wait_dscnt 0x0
	s_barrier_signal -1
	s_barrier_wait -1
	global_inv scope:SCOPE_SE
	v_lshlrev_b32_e32 v4, 4, v0
	s_mov_b32 s20, 0xf8bb580b
	s_mov_b32 s21, 0xbfe14ced
	;; [unrolled: 1-line block ×4, first 2 shown]
	s_clause 0x9
	global_load_b128 v[0:3], v4, s[8:9] offset:816
	global_load_b128 v[6:9], v4, s[8:9] offset:960
	global_load_b128 v[10:13], v4, s[8:9] offset:832
	global_load_b128 v[14:17], v4, s[8:9] offset:944
	global_load_b128 v[18:21], v4, s[8:9] offset:848
	global_load_b128 v[22:25], v4, s[8:9] offset:928
	global_load_b128 v[26:29], v4, s[8:9] offset:864
	global_load_b128 v[30:33], v4, s[8:9] offset:912
	global_load_b128 v[34:37], v4, s[8:9] offset:880
	global_load_b128 v[38:41], v4, s[8:9] offset:896
	ds_load_b128 v[42:45], v220 offset:1088
	ds_load_b128 v[46:49], v220 offset:10880
	;; [unrolled: 1-line block ×10, first 2 shown]
	s_mov_b32 s18, 0x43842ef
	s_mov_b32 s19, 0xbfefac9e
	;; [unrolled: 1-line block ×12, first 2 shown]
	s_wait_alu 0xfffe
	s_mov_b32 s26, s20
	s_mov_b32 s11, 0xbfc2375f
	;; [unrolled: 1-line block ×10, first 2 shown]
	s_wait_loadcnt_dscnt 0x909
	v_mul_f64_e32 v[4:5], v[44:45], v[2:3]
	v_mul_f64_e32 v[2:3], v[42:43], v[2:3]
	s_wait_loadcnt_dscnt 0x808
	v_mul_f64_e32 v[82:83], v[46:47], v[8:9]
	v_mul_f64_e32 v[8:9], v[48:49], v[8:9]
	;; [unrolled: 3-line block ×7, first 2 shown]
	s_wait_loadcnt 0x2
	v_mul_f64_e32 v[100:101], v[68:69], v[32:33]
	v_mul_f64_e32 v[32:33], v[66:67], v[32:33]
	s_wait_loadcnt_dscnt 0x101
	v_mul_f64_e32 v[102:103], v[76:77], v[36:37]
	v_mul_f64_e32 v[36:37], v[74:75], v[36:37]
	s_wait_loadcnt_dscnt 0x0
	v_mul_f64_e32 v[104:105], v[80:81], v[40:41]
	v_mul_f64_e32 v[40:41], v[78:79], v[40:41]
	v_fma_f64 v[42:43], v[42:43], v[0:1], -v[4:5]
	v_fma_f64 v[44:45], v[44:45], v[0:1], v[2:3]
	ds_load_b128 v[0:3], v219
	v_fma_f64 v[4:5], v[48:49], v[6:7], v[82:83]
	v_fma_f64 v[6:7], v[46:47], v[6:7], -v[8:9]
	v_fma_f64 v[46:47], v[50:51], v[10:11], -v[90:91]
	v_fma_f64 v[48:49], v[52:53], v[10:11], v[12:13]
	v_fma_f64 v[10:11], v[54:55], v[14:15], -v[16:17]
	v_fma_f64 v[52:53], v[58:59], v[18:19], -v[94:95]
	v_fma_f64 v[18:19], v[60:61], v[18:19], v[20:21]
	v_fma_f64 v[12:13], v[64:65], v[22:23], v[96:97]
	;; [unrolled: 1-line block ×3, first 2 shown]
	v_fma_f64 v[14:15], v[62:63], v[22:23], -v[24:25]
	v_fma_f64 v[20:21], v[70:71], v[26:27], -v[98:99]
	v_fma_f64 v[22:23], v[72:73], v[26:27], v[28:29]
	v_fma_f64 v[24:25], v[66:67], v[30:31], -v[100:101]
	v_fma_f64 v[26:27], v[68:69], v[30:31], v[32:33]
	;; [unrolled: 2-line block ×4, first 2 shown]
	global_wb scope:SCOPE_SE
	s_wait_dscnt 0x0
	s_barrier_signal -1
	s_barrier_wait -1
	global_inv scope:SCOPE_SE
	v_add_f64_e32 v[16:17], v[0:1], v[42:43]
	v_add_f64_e32 v[50:51], v[2:3], v[44:45]
	v_add_f64_e64 v[36:37], v[44:45], -v[4:5]
	v_add_f64_e64 v[38:39], v[42:43], -v[6:7]
	v_add_f64_e32 v[42:43], v[42:43], v[6:7]
	v_add_f64_e32 v[44:45], v[44:45], v[4:5]
	v_add_f64_e64 v[54:55], v[46:47], -v[10:11]
	v_add_f64_e64 v[56:57], v[18:19], -v[12:13]
	v_add_f64_e32 v[62:63], v[18:19], v[12:13]
	v_add_f64_e64 v[40:41], v[48:49], -v[8:9]
	v_add_f64_e64 v[58:59], v[52:53], -v[14:15]
	v_add_f64_e32 v[60:61], v[52:53], v[14:15]
	v_add_f64_e32 v[64:65], v[20:21], v[24:25]
	v_add_f64_e64 v[66:67], v[22:23], -v[26:27]
	v_add_f64_e64 v[68:69], v[20:21], -v[24:25]
	v_add_f64_e32 v[70:71], v[22:23], v[26:27]
	v_add_f64_e64 v[76:77], v[28:29], -v[32:33]
	v_add_f64_e32 v[72:73], v[28:29], v[32:33]
	v_add_f64_e32 v[74:75], v[30:31], v[34:35]
	v_add_f64_e64 v[78:79], v[30:31], -v[34:35]
	v_add_f64_e32 v[16:17], v[16:17], v[46:47]
	v_add_f64_e32 v[50:51], v[50:51], v[48:49]
	;; [unrolled: 1-line block ×3, first 2 shown]
	v_mul_f64_e32 v[80:81], s[20:21], v[36:37]
	v_mul_f64_e32 v[82:83], s[20:21], v[38:39]
	;; [unrolled: 1-line block ×12, first 2 shown]
	s_mov_b32 s17, 0x3fed1bb4
	v_add_f64_e32 v[48:49], v[48:49], v[8:9]
	v_mul_f64_e32 v[106:107], s[22:23], v[40:41]
	v_mul_f64_e32 v[108:109], s[22:23], v[54:55]
	;; [unrolled: 1-line block ×3, first 2 shown]
	s_wait_alu 0xfffe
	v_mul_f64_e32 v[152:153], s[26:27], v[76:77]
	v_mul_f64_e32 v[156:157], s[22:23], v[76:77]
	;; [unrolled: 1-line block ×18, first 2 shown]
	v_add_f64_e32 v[16:17], v[16:17], v[52:53]
	v_add_f64_e32 v[18:19], v[50:51], v[18:19]
	v_mul_f64_e32 v[50:51], s[28:29], v[40:41]
	v_mul_f64_e32 v[52:53], s[28:29], v[54:55]
	;; [unrolled: 1-line block ×3, first 2 shown]
	v_fma_f64 v[162:163], v[42:43], s[4:5], -v[90:91]
	v_fma_f64 v[164:165], v[44:45], s[4:5], v[92:93]
	v_fma_f64 v[90:91], v[42:43], s[4:5], v[90:91]
	v_fma_f64 v[166:167], v[42:43], s[10:11], -v[94:95]
	v_fma_f64 v[168:169], v[44:45], s[10:11], v[96:97]
	v_fma_f64 v[94:95], v[42:43], s[10:11], v[94:95]
	v_fma_f64 v[170:171], v[42:43], s[12:13], -v[98:99]
	v_fma_f64 v[172:173], v[44:45], s[12:13], v[100:101]
	v_mul_f64_e32 v[54:55], s[26:27], v[54:55]
	v_fma_f64 v[174:175], v[42:43], s[14:15], -v[36:37]
	v_fma_f64 v[176:177], v[44:45], s[14:15], v[38:39]
	v_fma_f64 v[98:99], v[42:43], s[12:13], v[98:99]
	v_fma_f64 v[36:37], v[42:43], s[14:15], v[36:37]
	v_fma_f64 v[38:39], v[44:45], s[14:15], -v[38:39]
	v_fma_f64 v[100:101], v[44:45], s[12:13], -v[100:101]
	;; [unrolled: 1-line block ×5, first 2 shown]
	v_fma_f64 v[180:181], v[48:49], s[12:13], v[108:109]
	v_fma_f64 v[106:107], v[46:47], s[12:13], v[106:107]
	v_fma_f64 v[186:187], v[46:47], s[10:11], -v[110:111]
	v_fma_f64 v[188:189], v[48:49], s[10:11], v[112:113]
	v_fma_f64 v[110:111], v[46:47], s[10:11], v[110:111]
	v_fma_f64 v[108:109], v[48:49], s[12:13], -v[108:109]
	v_mul_f64_e32 v[136:137], s[30:31], v[68:69]
	v_fma_f64 v[190:191], v[60:61], s[14:15], -v[118:119]
	v_fma_f64 v[192:193], v[62:63], s[14:15], v[120:121]
	v_fma_f64 v[118:119], v[60:61], s[14:15], v[118:119]
	v_fma_f64 v[120:121], v[62:63], s[14:15], -v[120:121]
	v_fma_f64 v[194:195], v[60:61], s[0:1], -v[122:123]
	v_fma_f64 v[196:197], v[62:63], s[0:1], v[124:125]
	v_fma_f64 v[122:123], v[60:61], s[0:1], v[122:123]
	v_fma_f64 v[124:125], v[62:63], s[0:1], -v[124:125]
	v_add_f64_e32 v[16:17], v[16:17], v[20:21]
	v_add_f64_e32 v[18:19], v[18:19], v[22:23]
	v_mul_f64_e32 v[20:21], s[16:17], v[76:77]
	v_fma_f64 v[22:23], v[42:43], s[0:1], -v[80:81]
	v_fma_f64 v[76:77], v[44:45], s[0:1], v[82:83]
	v_fma_f64 v[80:81], v[42:43], s[0:1], v[80:81]
	v_fma_f64 v[82:83], v[44:45], s[0:1], -v[82:83]
	v_fma_f64 v[42:43], v[46:47], s[4:5], -v[102:103]
	v_fma_f64 v[44:45], v[48:49], s[4:5], v[104:105]
	v_fma_f64 v[102:103], v[46:47], s[4:5], v[102:103]
	v_fma_f64 v[104:105], v[48:49], s[4:5], -v[104:105]
	v_add_f64_e32 v[162:163], v[0:1], v[162:163]
	v_add_f64_e32 v[164:165], v[2:3], v[164:165]
	v_fma_f64 v[182:183], v[46:47], s[14:15], -v[50:51]
	v_fma_f64 v[184:185], v[48:49], s[14:15], v[52:53]
	v_add_f64_e32 v[90:91], v[0:1], v[90:91]
	v_add_f64_e32 v[166:167], v[0:1], v[166:167]
	;; [unrolled: 1-line block ×3, first 2 shown]
	v_fma_f64 v[50:51], v[46:47], s[14:15], v[50:51]
	v_add_f64_e32 v[94:95], v[0:1], v[94:95]
	v_add_f64_e32 v[170:171], v[0:1], v[170:171]
	;; [unrolled: 1-line block ×6, first 2 shown]
	v_fma_f64 v[52:53], v[48:49], s[14:15], -v[52:53]
	v_add_f64_e32 v[96:97], v[2:3], v[96:97]
	v_add_f64_e32 v[92:93], v[2:3], v[92:93]
	v_fma_f64 v[202:203], v[60:61], s[4:5], -v[56:57]
	v_fma_f64 v[204:205], v[62:63], s[4:5], v[58:59]
	v_fma_f64 v[56:57], v[60:61], s[4:5], v[56:57]
	v_fma_f64 v[58:59], v[62:63], s[4:5], -v[58:59]
	v_mul_f64_e32 v[138:139], s[20:21], v[66:67]
	v_mul_f64_e32 v[140:141], s[20:21], v[68:69]
	;; [unrolled: 1-line block ×6, first 2 shown]
	v_add_f64_e32 v[16:17], v[16:17], v[28:29]
	v_add_f64_e32 v[18:19], v[18:19], v[30:31]
	v_fma_f64 v[28:29], v[48:49], s[10:11], -v[112:113]
	v_add_f64_e32 v[22:23], v[0:1], v[22:23]
	v_fma_f64 v[30:31], v[46:47], s[0:1], -v[40:41]
	v_add_f64_e32 v[80:81], v[0:1], v[80:81]
	v_add_f64_e32 v[82:83], v[2:3], v[82:83]
	v_fma_f64 v[112:113], v[48:49], s[0:1], v[54:55]
	v_fma_f64 v[40:41], v[46:47], s[0:1], v[40:41]
	v_fma_f64 v[46:47], v[48:49], s[0:1], -v[54:55]
	v_add_f64_e32 v[0:1], v[0:1], v[36:37]
	v_add_f64_e32 v[36:37], v[2:3], v[38:39]
	;; [unrolled: 1-line block ×4, first 2 shown]
	v_fma_f64 v[48:49], v[60:61], s[10:11], -v[114:115]
	v_fma_f64 v[54:55], v[62:63], s[10:11], v[116:117]
	v_fma_f64 v[114:115], v[60:61], s[10:11], v[114:115]
	v_fma_f64 v[116:117], v[62:63], s[10:11], -v[116:117]
	v_fma_f64 v[76:77], v[60:61], s[12:13], v[126:127]
	v_fma_f64 v[100:101], v[62:63], s[12:13], -v[128:129]
	v_add_f64_e32 v[50:51], v[50:51], v[94:95]
	v_add_f64_e32 v[94:95], v[186:187], v[170:171]
	v_mul_f64_e32 v[150:151], s[26:27], v[78:79]
	v_fma_f64 v[198:199], v[64:65], s[10:11], -v[134:135]
	v_add_f64_e32 v[98:99], v[110:111], v[98:99]
	v_fma_f64 v[200:201], v[70:71], s[10:11], v[136:137]
	v_mul_f64_e32 v[146:147], s[24:25], v[78:79]
	v_mul_f64_e32 v[154:155], s[22:23], v[78:79]
	v_fma_f64 v[134:135], v[64:65], s[10:11], v[134:135]
	v_fma_f64 v[136:137], v[70:71], s[10:11], -v[136:137]
	v_mul_f64_e32 v[158:159], s[18:19], v[78:79]
	v_mul_f64_e32 v[78:79], s[16:17], v[78:79]
	v_add_f64_e32 v[16:17], v[16:17], v[32:33]
	v_add_f64_e32 v[18:19], v[18:19], v[34:35]
	v_fma_f64 v[32:33], v[60:61], s[12:13], -v[126:127]
	v_fma_f64 v[34:35], v[62:63], s[12:13], v[128:129]
	v_add_f64_e32 v[22:23], v[42:43], v[22:23]
	v_add_f64_e32 v[42:43], v[102:103], v[80:81]
	;; [unrolled: 1-line block ×17, first 2 shown]
	v_fma_f64 v[126:127], v[64:65], s[12:13], -v[130:131]
	v_fma_f64 v[128:129], v[70:71], s[12:13], v[132:133]
	v_fma_f64 v[130:131], v[64:65], s[12:13], v[130:131]
	v_fma_f64 v[132:133], v[70:71], s[12:13], -v[132:133]
	v_fma_f64 v[44:45], v[64:65], s[0:1], v[138:139]
	v_fma_f64 v[46:47], v[70:71], s[0:1], -v[140:141]
	v_fma_f64 v[52:53], v[64:65], s[14:15], -v[142:143]
	v_fma_f64 v[92:93], v[70:71], s[14:15], v[144:145]
	v_fma_f64 v[96:97], v[64:65], s[14:15], v[142:143]
	v_fma_f64 v[108:109], v[70:71], s[14:15], -v[144:145]
	v_fma_f64 v[142:143], v[64:65], s[4:5], -v[66:67]
	v_fma_f64 v[144:145], v[70:71], s[4:5], v[68:69]
	v_add_f64_e32 v[50:51], v[56:57], v[50:51]
	v_add_f64_e32 v[56:57], v[194:195], v[94:95]
	v_fma_f64 v[112:113], v[74:75], s[14:15], v[148:149]
	v_fma_f64 v[110:111], v[72:73], s[14:15], -v[146:147]
	v_fma_f64 v[94:95], v[72:73], s[12:13], v[154:155]
	v_add_f64_e32 v[16:17], v[16:17], v[24:25]
	v_add_f64_e32 v[18:19], v[18:19], v[26:27]
	v_fma_f64 v[24:25], v[64:65], s[0:1], -v[138:139]
	v_fma_f64 v[26:27], v[70:71], s[0:1], v[140:141]
	v_add_f64_e32 v[22:23], v[48:49], v[22:23]
	v_add_f64_e32 v[42:43], v[114:115], v[42:43]
	;; [unrolled: 1-line block ×5, first 2 shown]
	v_fma_f64 v[64:65], v[64:65], s[4:5], v[66:67]
	v_fma_f64 v[66:67], v[70:71], s[4:5], -v[68:69]
	v_add_f64_e32 v[70:71], v[202:203], v[90:91]
	v_add_f64_e32 v[80:81], v[204:205], v[102:103]
	v_add_f64_e32 v[68:69], v[118:119], v[82:83]
	v_add_f64_e32 v[82:83], v[196:197], v[104:105]
	v_add_f64_e32 v[30:31], v[32:33], v[30:31]
	v_add_f64_e32 v[32:33], v[34:35], v[106:107]
	v_add_f64_e32 v[0:1], v[76:77], v[0:1]
	v_add_f64_e32 v[34:35], v[100:101], v[36:37]
	v_add_f64_e32 v[90:91], v[122:123], v[98:99]
	v_add_f64_e32 v[28:29], v[124:125], v[28:29]
	v_add_f64_e32 v[36:37], v[58:59], v[38:39]
	v_add_f64_e32 v[38:39], v[120:121], v[40:41]
	v_add_f64_e32 v[2:3], v[54:55], v[2:3]
	v_fma_f64 v[140:141], v[74:75], s[14:15], -v[148:149]
	v_fma_f64 v[54:55], v[74:75], s[0:1], -v[152:153]
	v_fma_f64 v[76:77], v[74:75], s[12:13], v[156:157]
	v_fma_f64 v[98:99], v[74:75], s[12:13], -v[156:157]
	v_fma_f64 v[102:103], v[74:75], s[10:11], v[160:161]
	;; [unrolled: 2-line block ×3, first 2 shown]
	v_fma_f64 v[138:139], v[72:73], s[14:15], v[146:147]
	v_fma_f64 v[58:59], v[72:73], s[12:13], -v[154:155]
	v_fma_f64 v[114:115], v[72:73], s[4:5], -v[78:79]
	v_add_f64_e32 v[44:45], v[44:45], v[50:51]
	v_add_f64_e32 v[50:51], v[52:53], v[56:57]
	v_fma_f64 v[100:101], v[72:73], s[10:11], -v[158:159]
	v_fma_f64 v[40:41], v[72:73], s[0:1], v[150:151]
	v_add_f64_e32 v[14:15], v[16:17], v[14:15]
	v_add_f64_e32 v[12:13], v[18:19], v[12:13]
	v_fma_f64 v[16:17], v[72:73], s[0:1], -v[150:151]
	v_fma_f64 v[18:19], v[74:75], s[0:1], v[152:153]
	v_fma_f64 v[74:75], v[74:75], s[4:5], -v[20:21]
	v_add_f64_e32 v[20:21], v[126:127], v[22:23]
	v_add_f64_e32 v[22:23], v[130:131], v[42:43]
	;; [unrolled: 1-line block ×5, first 2 shown]
	v_fma_f64 v[104:105], v[72:73], s[10:11], v[158:159]
	v_add_f64_e32 v[24:25], v[24:25], v[70:71]
	v_add_f64_e32 v[26:27], v[26:27], v[80:81]
	;; [unrolled: 1-line block ×8, first 2 shown]
	v_fma_f64 v[72:73], v[72:73], s[4:5], v[78:79]
	v_add_f64_e32 v[56:57], v[96:97], v[90:91]
	v_add_f64_e32 v[66:67], v[108:109], v[28:29]
	;; [unrolled: 1-line block ×5, first 2 shown]
	s_mov_b32 s1, exec_lo
	v_add_f64_e32 v[28:29], v[114:115], v[50:51]
	v_add_f64_e32 v[80:81], v[14:15], v[10:11]
	;; [unrolled: 1-line block ×24, first 2 shown]
	ds_store_b128 v220, v[12:15] offset:2176
	ds_store_b128 v220, v[20:23] offset:3264
	ds_store_b128 v220, v[28:31] offset:4352
	ds_store_b128 v220, v[36:39] offset:5440
	ds_store_b128 v220, v[40:43] offset:6528
	ds_store_b128 v220, v[32:35] offset:7616
	ds_store_b128 v220, v[24:27] offset:8704
	ds_store_b128 v220, v[16:19] offset:9792
	ds_store_b128 v220, v[8:11] offset:10880
	ds_store_b128 v220, v[44:47]
	ds_store_b128 v220, v[0:3] offset:1088
	global_wb scope:SCOPE_SE
	s_wait_dscnt 0x0
	s_barrier_signal -1
	s_barrier_wait -1
	global_inv scope:SCOPE_SE
	ds_load_b128 v[4:7], v219
	v_sub_nc_u32_e32 v12, v218, v87
                                        ; implicit-def: $vgpr2_vgpr3
                                        ; implicit-def: $vgpr8_vgpr9
                                        ; implicit-def: $vgpr10_vgpr11
	v_cmpx_ne_u32_e32 0, v86
	s_wait_alu 0xfffe
	s_xor_b32 s1, exec_lo, s1
	s_cbranch_execz .LBB0_20
; %bb.19:
	v_mov_b32_e32 v87, 0
	s_delay_alu instid0(VALU_DEP_1) | instskip(NEXT) | instid1(VALU_DEP_1)
	v_lshlrev_b64_e32 v[0:1], 4, v[86:87]
	v_add_co_u32 v0, s0, s8, v0
	s_wait_alu 0xf1ff
	s_delay_alu instid0(VALU_DEP_2)
	v_add_co_ci_u32_e64 v1, s0, s9, v1, s0
	global_load_b128 v[13:16], v[0:1], off offset:11696
	ds_load_b128 v[0:3], v12 offset:11968
	s_wait_dscnt 0x0
	v_add_f64_e64 v[8:9], v[4:5], -v[0:1]
	v_add_f64_e32 v[10:11], v[6:7], v[2:3]
	v_add_f64_e64 v[2:3], v[6:7], -v[2:3]
	v_add_f64_e32 v[0:1], v[4:5], v[0:1]
	s_delay_alu instid0(VALU_DEP_4) | instskip(NEXT) | instid1(VALU_DEP_4)
	v_mul_f64_e32 v[6:7], 0.5, v[8:9]
	v_mul_f64_e32 v[4:5], 0.5, v[10:11]
	s_delay_alu instid0(VALU_DEP_4) | instskip(SKIP_1) | instid1(VALU_DEP_3)
	v_mul_f64_e32 v[2:3], 0.5, v[2:3]
	s_wait_loadcnt 0x0
	v_mul_f64_e32 v[8:9], v[6:7], v[15:16]
	s_delay_alu instid0(VALU_DEP_2) | instskip(SKIP_1) | instid1(VALU_DEP_3)
	v_fma_f64 v[10:11], v[4:5], v[15:16], v[2:3]
	v_fma_f64 v[2:3], v[4:5], v[15:16], -v[2:3]
	v_fma_f64 v[17:18], v[0:1], 0.5, v[8:9]
	v_fma_f64 v[0:1], v[0:1], 0.5, -v[8:9]
	s_delay_alu instid0(VALU_DEP_4) | instskip(NEXT) | instid1(VALU_DEP_4)
	v_fma_f64 v[8:9], -v[13:14], v[6:7], v[10:11]
	v_fma_f64 v[2:3], -v[13:14], v[6:7], v[2:3]
	v_dual_mov_b32 v10, v86 :: v_dual_mov_b32 v11, v87
	v_fma_f64 v[15:16], v[4:5], v[13:14], v[17:18]
	v_fma_f64 v[0:1], -v[4:5], v[13:14], v[0:1]
                                        ; implicit-def: $vgpr4_vgpr5
	ds_store_b64 v219, v[15:16]
.LBB0_20:
	s_wait_alu 0xfffe
	s_and_not1_saveexec_b32 s0, s1
	s_cbranch_execz .LBB0_22
; %bb.21:
	s_wait_dscnt 0x0
	v_add_f64_e32 v[13:14], v[4:5], v[6:7]
	v_add_f64_e64 v[0:1], v[4:5], -v[6:7]
	ds_load_b64 v[4:5], v218 offset:5992
	v_mov_b32_e32 v8, 0
	v_dual_mov_b32 v9, 0 :: v_dual_mov_b32 v10, 0
	s_delay_alu instid0(VALU_DEP_2) | instskip(NEXT) | instid1(VALU_DEP_2)
	v_dual_mov_b32 v11, 0 :: v_dual_mov_b32 v2, v8
	v_mov_b32_e32 v3, v9
	s_wait_dscnt 0x0
	v_xor_b32_e32 v5, 0x80000000, v5
	ds_store_b64 v219, v[13:14]
	ds_store_b64 v218, v[4:5] offset:5992
.LBB0_22:
	s_wait_alu 0xfffe
	s_or_b32 exec_lo, exec_lo, s0
	s_wait_dscnt 0x0
	v_lshlrev_b64_e32 v[4:5], 4, v[10:11]
	s_add_nc_u64 s[0:1], s[8:9], 0x2db0
	s_wait_alu 0xfffe
	s_delay_alu instid0(VALU_DEP_1) | instskip(SKIP_1) | instid1(VALU_DEP_2)
	v_add_co_u32 v4, s0, s0, v4
	s_wait_alu 0xf1ff
	v_add_co_ci_u32_e64 v5, s0, s1, v5, s0
	s_mov_b32 s1, exec_lo
	s_clause 0x1
	global_load_b128 v[13:16], v[4:5], off offset:1088
	global_load_b128 v[17:20], v[4:5], off offset:2176
	ds_store_b64 v219, v[8:9] offset:8
	ds_store_b128 v12, v[0:3] offset:11968
	ds_load_b128 v[0:3], v219 offset:1088
	ds_load_b128 v[6:9], v12 offset:10880
	s_wait_dscnt 0x0
	v_add_f64_e64 v[10:11], v[0:1], -v[6:7]
	v_add_f64_e32 v[21:22], v[2:3], v[8:9]
	v_add_f64_e64 v[2:3], v[2:3], -v[8:9]
	v_add_f64_e32 v[0:1], v[0:1], v[6:7]
	s_delay_alu instid0(VALU_DEP_4) | instskip(NEXT) | instid1(VALU_DEP_4)
	v_mul_f64_e32 v[8:9], 0.5, v[10:11]
	v_mul_f64_e32 v[10:11], 0.5, v[21:22]
	s_delay_alu instid0(VALU_DEP_4) | instskip(SKIP_1) | instid1(VALU_DEP_3)
	v_mul_f64_e32 v[2:3], 0.5, v[2:3]
	s_wait_loadcnt 0x1
	v_mul_f64_e32 v[6:7], v[8:9], v[15:16]
	s_delay_alu instid0(VALU_DEP_2) | instskip(SKIP_1) | instid1(VALU_DEP_3)
	v_fma_f64 v[21:22], v[10:11], v[15:16], v[2:3]
	v_fma_f64 v[15:16], v[10:11], v[15:16], -v[2:3]
	v_fma_f64 v[23:24], v[0:1], 0.5, v[6:7]
	v_fma_f64 v[6:7], v[0:1], 0.5, -v[6:7]
	s_delay_alu instid0(VALU_DEP_4) | instskip(NEXT) | instid1(VALU_DEP_4)
	v_fma_f64 v[2:3], -v[13:14], v[8:9], v[21:22]
	v_fma_f64 v[8:9], -v[13:14], v[8:9], v[15:16]
	s_delay_alu instid0(VALU_DEP_4) | instskip(NEXT) | instid1(VALU_DEP_4)
	v_fma_f64 v[0:1], v[10:11], v[13:14], v[23:24]
	v_fma_f64 v[6:7], -v[10:11], v[13:14], v[6:7]
	global_load_b128 v[13:16], v[4:5], off offset:3264
	ds_store_b128 v219, v[0:3] offset:1088
	ds_store_b128 v12, v[6:9] offset:10880
	ds_load_b128 v[0:3], v219 offset:2176
	ds_load_b128 v[6:9], v12 offset:9792
	s_wait_dscnt 0x0
	v_add_f64_e64 v[10:11], v[0:1], -v[6:7]
	v_add_f64_e32 v[21:22], v[2:3], v[8:9]
	v_add_f64_e64 v[2:3], v[2:3], -v[8:9]
	v_add_f64_e32 v[0:1], v[0:1], v[6:7]
	s_delay_alu instid0(VALU_DEP_4) | instskip(NEXT) | instid1(VALU_DEP_4)
	v_mul_f64_e32 v[8:9], 0.5, v[10:11]
	v_mul_f64_e32 v[10:11], 0.5, v[21:22]
	s_delay_alu instid0(VALU_DEP_4) | instskip(SKIP_1) | instid1(VALU_DEP_3)
	v_mul_f64_e32 v[2:3], 0.5, v[2:3]
	s_wait_loadcnt 0x1
	v_mul_f64_e32 v[6:7], v[8:9], v[19:20]
	s_delay_alu instid0(VALU_DEP_2) | instskip(SKIP_1) | instid1(VALU_DEP_3)
	v_fma_f64 v[21:22], v[10:11], v[19:20], v[2:3]
	v_fma_f64 v[19:20], v[10:11], v[19:20], -v[2:3]
	v_fma_f64 v[23:24], v[0:1], 0.5, v[6:7]
	v_fma_f64 v[6:7], v[0:1], 0.5, -v[6:7]
	s_delay_alu instid0(VALU_DEP_4) | instskip(NEXT) | instid1(VALU_DEP_4)
	v_fma_f64 v[2:3], -v[17:18], v[8:9], v[21:22]
	v_fma_f64 v[8:9], -v[17:18], v[8:9], v[19:20]
	s_delay_alu instid0(VALU_DEP_4) | instskip(NEXT) | instid1(VALU_DEP_4)
	v_fma_f64 v[0:1], v[10:11], v[17:18], v[23:24]
	v_fma_f64 v[6:7], -v[10:11], v[17:18], v[6:7]
	global_load_b128 v[17:20], v[4:5], off offset:4352
	ds_store_b128 v219, v[0:3] offset:2176
	ds_store_b128 v12, v[6:9] offset:9792
	ds_load_b128 v[0:3], v219 offset:3264
	ds_load_b128 v[6:9], v12 offset:8704
	s_wait_dscnt 0x0
	v_add_f64_e64 v[10:11], v[0:1], -v[6:7]
	v_add_f64_e32 v[21:22], v[2:3], v[8:9]
	v_add_f64_e64 v[2:3], v[2:3], -v[8:9]
	v_add_f64_e32 v[0:1], v[0:1], v[6:7]
	s_delay_alu instid0(VALU_DEP_4) | instskip(NEXT) | instid1(VALU_DEP_4)
	v_mul_f64_e32 v[8:9], 0.5, v[10:11]
	v_mul_f64_e32 v[10:11], 0.5, v[21:22]
	s_delay_alu instid0(VALU_DEP_4) | instskip(SKIP_1) | instid1(VALU_DEP_3)
	v_mul_f64_e32 v[2:3], 0.5, v[2:3]
	s_wait_loadcnt 0x1
	v_mul_f64_e32 v[6:7], v[8:9], v[15:16]
	s_delay_alu instid0(VALU_DEP_2) | instskip(SKIP_1) | instid1(VALU_DEP_3)
	v_fma_f64 v[21:22], v[10:11], v[15:16], v[2:3]
	v_fma_f64 v[15:16], v[10:11], v[15:16], -v[2:3]
	v_fma_f64 v[23:24], v[0:1], 0.5, v[6:7]
	v_fma_f64 v[6:7], v[0:1], 0.5, -v[6:7]
	s_delay_alu instid0(VALU_DEP_4) | instskip(NEXT) | instid1(VALU_DEP_4)
	v_fma_f64 v[2:3], -v[13:14], v[8:9], v[21:22]
	v_fma_f64 v[8:9], -v[13:14], v[8:9], v[15:16]
	s_delay_alu instid0(VALU_DEP_4) | instskip(NEXT) | instid1(VALU_DEP_4)
	v_fma_f64 v[0:1], v[10:11], v[13:14], v[23:24]
	v_fma_f64 v[6:7], -v[10:11], v[13:14], v[6:7]
	ds_store_b128 v219, v[0:3] offset:3264
	ds_store_b128 v12, v[6:9] offset:8704
	ds_load_b128 v[0:3], v219 offset:4352
	ds_load_b128 v[6:9], v12 offset:7616
	s_wait_dscnt 0x0
	v_add_f64_e64 v[10:11], v[0:1], -v[6:7]
	v_add_f64_e32 v[13:14], v[2:3], v[8:9]
	v_add_f64_e64 v[2:3], v[2:3], -v[8:9]
	v_add_f64_e32 v[0:1], v[0:1], v[6:7]
	s_delay_alu instid0(VALU_DEP_4) | instskip(NEXT) | instid1(VALU_DEP_4)
	v_mul_f64_e32 v[8:9], 0.5, v[10:11]
	v_mul_f64_e32 v[10:11], 0.5, v[13:14]
	s_delay_alu instid0(VALU_DEP_4) | instskip(SKIP_1) | instid1(VALU_DEP_3)
	v_mul_f64_e32 v[2:3], 0.5, v[2:3]
	s_wait_loadcnt 0x0
	v_mul_f64_e32 v[6:7], v[8:9], v[19:20]
	s_delay_alu instid0(VALU_DEP_2) | instskip(SKIP_1) | instid1(VALU_DEP_3)
	v_fma_f64 v[13:14], v[10:11], v[19:20], v[2:3]
	v_fma_f64 v[15:16], v[10:11], v[19:20], -v[2:3]
	v_fma_f64 v[19:20], v[0:1], 0.5, v[6:7]
	v_fma_f64 v[6:7], v[0:1], 0.5, -v[6:7]
	s_delay_alu instid0(VALU_DEP_4) | instskip(NEXT) | instid1(VALU_DEP_4)
	v_fma_f64 v[2:3], -v[17:18], v[8:9], v[13:14]
	v_fma_f64 v[8:9], -v[17:18], v[8:9], v[15:16]
	s_delay_alu instid0(VALU_DEP_4) | instskip(NEXT) | instid1(VALU_DEP_4)
	v_fma_f64 v[0:1], v[10:11], v[17:18], v[19:20]
	v_fma_f64 v[6:7], -v[10:11], v[17:18], v[6:7]
	ds_store_b128 v219, v[0:3] offset:4352
	ds_store_b128 v12, v[6:9] offset:7616
	v_cmpx_gt_u32_e32 34, v86
	s_cbranch_execz .LBB0_24
; %bb.23:
	global_load_b128 v[0:3], v[4:5], off offset:5440
	ds_load_b128 v[4:7], v219 offset:5440
	ds_load_b128 v[8:11], v12 offset:6528
	s_wait_dscnt 0x0
	v_add_f64_e64 v[13:14], v[4:5], -v[8:9]
	v_add_f64_e32 v[15:16], v[6:7], v[10:11]
	v_add_f64_e64 v[6:7], v[6:7], -v[10:11]
	v_add_f64_e32 v[4:5], v[4:5], v[8:9]
	s_delay_alu instid0(VALU_DEP_4) | instskip(NEXT) | instid1(VALU_DEP_4)
	v_mul_f64_e32 v[10:11], 0.5, v[13:14]
	v_mul_f64_e32 v[13:14], 0.5, v[15:16]
	s_delay_alu instid0(VALU_DEP_4) | instskip(SKIP_1) | instid1(VALU_DEP_3)
	v_mul_f64_e32 v[6:7], 0.5, v[6:7]
	s_wait_loadcnt 0x0
	v_mul_f64_e32 v[8:9], v[10:11], v[2:3]
	s_delay_alu instid0(VALU_DEP_2) | instskip(SKIP_1) | instid1(VALU_DEP_3)
	v_fma_f64 v[15:16], v[13:14], v[2:3], v[6:7]
	v_fma_f64 v[2:3], v[13:14], v[2:3], -v[6:7]
	v_fma_f64 v[6:7], v[4:5], 0.5, v[8:9]
	v_fma_f64 v[17:18], v[4:5], 0.5, -v[8:9]
	s_delay_alu instid0(VALU_DEP_4) | instskip(NEXT) | instid1(VALU_DEP_4)
	v_fma_f64 v[4:5], -v[0:1], v[10:11], v[15:16]
	v_fma_f64 v[8:9], -v[0:1], v[10:11], v[2:3]
	s_delay_alu instid0(VALU_DEP_4) | instskip(NEXT) | instid1(VALU_DEP_4)
	v_fma_f64 v[2:3], v[13:14], v[0:1], v[6:7]
	v_fma_f64 v[6:7], -v[13:14], v[0:1], v[17:18]
	ds_store_b128 v219, v[2:5] offset:5440
	ds_store_b128 v12, v[6:9] offset:6528
.LBB0_24:
	s_wait_alu 0xfffe
	s_or_b32 exec_lo, exec_lo, s1
	global_wb scope:SCOPE_SE
	s_wait_dscnt 0x0
	s_barrier_signal -1
	s_barrier_wait -1
	global_inv scope:SCOPE_SE
	s_and_saveexec_b32 s0, vcc_lo
	s_cbranch_execz .LBB0_27
; %bb.25:
	v_mul_lo_u32 v2, s3, v88
	v_mul_lo_u32 v3, s2, v89
	v_mad_co_u64_u32 v[0:1], null, s2, v88, 0
	v_mov_b32_e32 v87, 0
	v_lshlrev_b64_e32 v[11:12], 4, v[84:85]
	v_add_nc_u32_e32 v13, 0x44, v86
	v_add_nc_u32_e32 v25, 0x154, v86
	s_delay_alu instid0(VALU_DEP_4)
	v_dual_mov_b32 v28, v87 :: v_dual_add_nc_u32 v27, 0x198, v86
	v_add3_u32 v1, v1, v3, v2
	v_lshl_add_u32 v2, v86, 4, v218
	v_mov_b32_e32 v14, v87
	ds_load_b128 v[3:6], v2
	ds_load_b128 v[7:10], v2 offset:1088
	v_lshlrev_b64_e32 v[0:1], 4, v[0:1]
	v_lshlrev_b64_e32 v[15:16], 4, v[86:87]
	v_dual_mov_b32 v26, v87 :: v_dual_add_nc_u32 v31, 0x2a8, v86
	v_mov_b32_e32 v32, v87
	s_delay_alu instid0(VALU_DEP_4) | instskip(SKIP_3) | instid1(VALU_DEP_3)
	v_add_co_u32 v0, vcc_lo, s6, v0
	s_wait_alu 0xfffd
	v_add_co_ci_u32_e32 v1, vcc_lo, s7, v1, vcc_lo
	v_lshlrev_b64_e32 v[25:26], 4, v[25:26]
	v_add_co_u32 v0, vcc_lo, v0, v11
	s_wait_alu 0xfffd
	s_delay_alu instid0(VALU_DEP_3) | instskip(SKIP_1) | instid1(VALU_DEP_3)
	v_add_co_ci_u32_e32 v1, vcc_lo, v1, v12, vcc_lo
	v_lshlrev_b64_e32 v[11:12], 4, v[13:14]
	v_add_co_u32 v13, vcc_lo, v0, v15
	s_wait_alu 0xfffd
	s_delay_alu instid0(VALU_DEP_3) | instskip(SKIP_1) | instid1(VALU_DEP_4)
	v_add_co_ci_u32_e32 v14, vcc_lo, v1, v16, vcc_lo
	v_dual_mov_b32 v16, v87 :: v_dual_add_nc_u32 v15, 0x88, v86
	v_add_co_u32 v11, vcc_lo, v0, v11
	s_wait_alu 0xfffd
	v_add_co_ci_u32_e32 v12, vcc_lo, v1, v12, vcc_lo
	s_wait_dscnt 0x1
	global_store_b128 v[13:14], v[3:6], off
	s_wait_dscnt 0x0
	global_store_b128 v[11:12], v[7:10], off
	v_lshlrev_b64_e32 v[3:4], 4, v[15:16]
	v_dual_mov_b32 v12, v87 :: v_dual_add_nc_u32 v11, 0xcc, v86
	v_dual_mov_b32 v14, v87 :: v_dual_add_nc_u32 v13, 0x110, v86
	v_lshlrev_b64_e32 v[31:32], 4, v[31:32]
	s_delay_alu instid0(VALU_DEP_4)
	v_add_co_u32 v19, vcc_lo, v0, v3
	s_wait_alu 0xfffd
	v_add_co_ci_u32_e32 v20, vcc_lo, v1, v4, vcc_lo
	ds_load_b128 v[3:6], v2 offset:2176
	ds_load_b128 v[7:10], v2 offset:3264
	v_lshlrev_b64_e32 v[21:22], 4, v[11:12]
	v_lshlrev_b64_e32 v[23:24], 4, v[13:14]
	ds_load_b128 v[11:14], v2 offset:4352
	ds_load_b128 v[15:18], v2 offset:5440
	v_add_co_u32 v21, vcc_lo, v0, v21
	s_wait_alu 0xfffd
	v_add_co_ci_u32_e32 v22, vcc_lo, v1, v22, vcc_lo
	v_add_co_u32 v23, vcc_lo, v0, v23
	s_wait_alu 0xfffd
	v_add_co_ci_u32_e32 v24, vcc_lo, v1, v24, vcc_lo
	;; [unrolled: 3-line block ×3, first 2 shown]
	s_wait_dscnt 0x3
	global_store_b128 v[19:20], v[3:6], off
	s_wait_dscnt 0x2
	global_store_b128 v[21:22], v[7:10], off
	;; [unrolled: 2-line block ×4, first 2 shown]
	v_dual_mov_b32 v12, v87 :: v_dual_add_nc_u32 v11, 0x1dc, v86
	v_lshlrev_b64_e32 v[3:4], 4, v[27:28]
	v_dual_mov_b32 v14, v87 :: v_dual_add_nc_u32 v13, 0x220, v86
	v_dual_mov_b32 v20, v87 :: v_dual_add_nc_u32 v19, 0x264, v86
	s_delay_alu instid0(VALU_DEP_4) | instskip(NEXT) | instid1(VALU_DEP_4)
	v_lshlrev_b64_e32 v[11:12], 4, v[11:12]
	v_add_co_u32 v23, vcc_lo, v0, v3
	s_wait_alu 0xfffd
	v_add_co_ci_u32_e32 v24, vcc_lo, v1, v4, vcc_lo
	ds_load_b128 v[3:6], v2 offset:6528
	ds_load_b128 v[7:10], v2 offset:7616
	v_add_co_u32 v25, vcc_lo, v0, v11
	s_wait_alu 0xfffd
	v_add_co_ci_u32_e32 v26, vcc_lo, v1, v12, vcc_lo
	v_lshlrev_b64_e32 v[27:28], 4, v[13:14]
	ds_load_b128 v[11:14], v2 offset:8704
	ds_load_b128 v[15:18], v2 offset:9792
	v_lshlrev_b64_e32 v[29:30], 4, v[19:20]
	ds_load_b128 v[19:22], v2 offset:10880
	v_add_co_u32 v27, vcc_lo, v0, v27
	s_wait_alu 0xfffd
	v_add_co_ci_u32_e32 v28, vcc_lo, v1, v28, vcc_lo
	v_add_co_u32 v29, vcc_lo, v0, v29
	s_wait_alu 0xfffd
	v_add_co_ci_u32_e32 v30, vcc_lo, v1, v30, vcc_lo
	;; [unrolled: 3-line block ×3, first 2 shown]
	v_cmp_eq_u32_e32 vcc_lo, 0x43, v86
	s_wait_dscnt 0x4
	global_store_b128 v[23:24], v[3:6], off
	s_wait_dscnt 0x3
	global_store_b128 v[25:26], v[7:10], off
	;; [unrolled: 2-line block ×5, first 2 shown]
	s_and_b32 exec_lo, exec_lo, vcc_lo
	s_cbranch_execz .LBB0_27
; %bb.26:
	ds_load_b128 v[2:5], v2 offset:10896
	s_wait_dscnt 0x0
	global_store_b128 v[0:1], v[2:5], off offset:11968
.LBB0_27:
	s_nop 0
	s_sendmsg sendmsg(MSG_DEALLOC_VGPRS)
	s_endpgm
	.section	.rodata,"a",@progbits
	.p2align	6, 0x0
	.amdhsa_kernel fft_rtc_fwd_len748_factors_17_4_11_wgs_204_tpt_68_halfLds_dp_op_CI_CI_unitstride_sbrr_R2C_dirReg
		.amdhsa_group_segment_fixed_size 0
		.amdhsa_private_segment_fixed_size 0
		.amdhsa_kernarg_size 104
		.amdhsa_user_sgpr_count 2
		.amdhsa_user_sgpr_dispatch_ptr 0
		.amdhsa_user_sgpr_queue_ptr 0
		.amdhsa_user_sgpr_kernarg_segment_ptr 1
		.amdhsa_user_sgpr_dispatch_id 0
		.amdhsa_user_sgpr_private_segment_size 0
		.amdhsa_wavefront_size32 1
		.amdhsa_uses_dynamic_stack 0
		.amdhsa_enable_private_segment 0
		.amdhsa_system_sgpr_workgroup_id_x 1
		.amdhsa_system_sgpr_workgroup_id_y 0
		.amdhsa_system_sgpr_workgroup_id_z 0
		.amdhsa_system_sgpr_workgroup_info 0
		.amdhsa_system_vgpr_workitem_id 0
		.amdhsa_next_free_vgpr 256
		.amdhsa_next_free_sgpr 58
		.amdhsa_reserve_vcc 1
		.amdhsa_float_round_mode_32 0
		.amdhsa_float_round_mode_16_64 0
		.amdhsa_float_denorm_mode_32 3
		.amdhsa_float_denorm_mode_16_64 3
		.amdhsa_fp16_overflow 0
		.amdhsa_workgroup_processor_mode 1
		.amdhsa_memory_ordered 1
		.amdhsa_forward_progress 0
		.amdhsa_round_robin_scheduling 0
		.amdhsa_exception_fp_ieee_invalid_op 0
		.amdhsa_exception_fp_denorm_src 0
		.amdhsa_exception_fp_ieee_div_zero 0
		.amdhsa_exception_fp_ieee_overflow 0
		.amdhsa_exception_fp_ieee_underflow 0
		.amdhsa_exception_fp_ieee_inexact 0
		.amdhsa_exception_int_div_zero 0
	.end_amdhsa_kernel
	.text
.Lfunc_end0:
	.size	fft_rtc_fwd_len748_factors_17_4_11_wgs_204_tpt_68_halfLds_dp_op_CI_CI_unitstride_sbrr_R2C_dirReg, .Lfunc_end0-fft_rtc_fwd_len748_factors_17_4_11_wgs_204_tpt_68_halfLds_dp_op_CI_CI_unitstride_sbrr_R2C_dirReg
                                        ; -- End function
	.section	.AMDGPU.csdata,"",@progbits
; Kernel info:
; codeLenInByte = 12988
; NumSgprs: 60
; NumVgprs: 256
; ScratchSize: 0
; MemoryBound: 0
; FloatMode: 240
; IeeeMode: 1
; LDSByteSize: 0 bytes/workgroup (compile time only)
; SGPRBlocks: 7
; VGPRBlocks: 31
; NumSGPRsForWavesPerEU: 60
; NumVGPRsForWavesPerEU: 256
; Occupancy: 5
; WaveLimiterHint : 1
; COMPUTE_PGM_RSRC2:SCRATCH_EN: 0
; COMPUTE_PGM_RSRC2:USER_SGPR: 2
; COMPUTE_PGM_RSRC2:TRAP_HANDLER: 0
; COMPUTE_PGM_RSRC2:TGID_X_EN: 1
; COMPUTE_PGM_RSRC2:TGID_Y_EN: 0
; COMPUTE_PGM_RSRC2:TGID_Z_EN: 0
; COMPUTE_PGM_RSRC2:TIDIG_COMP_CNT: 0
	.text
	.p2alignl 7, 3214868480
	.fill 96, 4, 3214868480
	.type	__hip_cuid_e1c153074090a39,@object ; @__hip_cuid_e1c153074090a39
	.section	.bss,"aw",@nobits
	.globl	__hip_cuid_e1c153074090a39
__hip_cuid_e1c153074090a39:
	.byte	0                               ; 0x0
	.size	__hip_cuid_e1c153074090a39, 1

	.ident	"AMD clang version 19.0.0git (https://github.com/RadeonOpenCompute/llvm-project roc-6.4.0 25133 c7fe45cf4b819c5991fe208aaa96edf142730f1d)"
	.section	".note.GNU-stack","",@progbits
	.addrsig
	.addrsig_sym __hip_cuid_e1c153074090a39
	.amdgpu_metadata
---
amdhsa.kernels:
  - .args:
      - .actual_access:  read_only
        .address_space:  global
        .offset:         0
        .size:           8
        .value_kind:     global_buffer
      - .offset:         8
        .size:           8
        .value_kind:     by_value
      - .actual_access:  read_only
        .address_space:  global
        .offset:         16
        .size:           8
        .value_kind:     global_buffer
      - .actual_access:  read_only
        .address_space:  global
        .offset:         24
        .size:           8
        .value_kind:     global_buffer
      - .actual_access:  read_only
        .address_space:  global
        .offset:         32
        .size:           8
        .value_kind:     global_buffer
      - .offset:         40
        .size:           8
        .value_kind:     by_value
      - .actual_access:  read_only
        .address_space:  global
        .offset:         48
        .size:           8
        .value_kind:     global_buffer
      - .actual_access:  read_only
        .address_space:  global
        .offset:         56
        .size:           8
        .value_kind:     global_buffer
      - .offset:         64
        .size:           4
        .value_kind:     by_value
      - .actual_access:  read_only
        .address_space:  global
        .offset:         72
        .size:           8
        .value_kind:     global_buffer
      - .actual_access:  read_only
        .address_space:  global
        .offset:         80
        .size:           8
        .value_kind:     global_buffer
      - .actual_access:  read_only
        .address_space:  global
        .offset:         88
        .size:           8
        .value_kind:     global_buffer
      - .actual_access:  write_only
        .address_space:  global
        .offset:         96
        .size:           8
        .value_kind:     global_buffer
    .group_segment_fixed_size: 0
    .kernarg_segment_align: 8
    .kernarg_segment_size: 104
    .language:       OpenCL C
    .language_version:
      - 2
      - 0
    .max_flat_workgroup_size: 204
    .name:           fft_rtc_fwd_len748_factors_17_4_11_wgs_204_tpt_68_halfLds_dp_op_CI_CI_unitstride_sbrr_R2C_dirReg
    .private_segment_fixed_size: 0
    .sgpr_count:     60
    .sgpr_spill_count: 0
    .symbol:         fft_rtc_fwd_len748_factors_17_4_11_wgs_204_tpt_68_halfLds_dp_op_CI_CI_unitstride_sbrr_R2C_dirReg.kd
    .uniform_work_group_size: 1
    .uses_dynamic_stack: false
    .vgpr_count:     256
    .vgpr_spill_count: 0
    .wavefront_size: 32
    .workgroup_processor_mode: 1
amdhsa.target:   amdgcn-amd-amdhsa--gfx1201
amdhsa.version:
  - 1
  - 2
...

	.end_amdgpu_metadata
